;; amdgpu-corpus repo=ROCm/rocFFT kind=compiled arch=gfx906 opt=O3
	.text
	.amdgcn_target "amdgcn-amd-amdhsa--gfx906"
	.amdhsa_code_object_version 6
	.protected	bluestein_single_back_len1232_dim1_dp_op_CI_CI ; -- Begin function bluestein_single_back_len1232_dim1_dp_op_CI_CI
	.globl	bluestein_single_back_len1232_dim1_dp_op_CI_CI
	.p2align	8
	.type	bluestein_single_back_len1232_dim1_dp_op_CI_CI,@function
bluestein_single_back_len1232_dim1_dp_op_CI_CI: ; @bluestein_single_back_len1232_dim1_dp_op_CI_CI
; %bb.0:
	s_load_dwordx4 s[8:11], s[4:5], 0x28
	s_mov_b64 s[50:51], s[2:3]
	v_mul_u32_u24_e32 v1, 0x175, v0
	s_mov_b64 s[48:49], s[0:1]
	v_add_u32_sdwa v4, s6, v1 dst_sel:DWORD dst_unused:UNUSED_PAD src0_sel:DWORD src1_sel:WORD_1
	v_mov_b32_e32 v5, 0
	s_add_u32 s48, s48, s7
	s_waitcnt lgkmcnt(0)
	v_cmp_gt_u64_e32 vcc, s[8:9], v[4:5]
	s_addc_u32 s49, s49, 0
	s_and_saveexec_b64 s[0:1], vcc
	s_cbranch_execz .LBB0_47
; %bb.1:
	s_load_dwordx4 s[12:15], s[4:5], 0x18
	s_load_dwordx2 s[16:17], s[4:5], 0x0
	s_movk_i32 s6, 0xb0
	v_mul_lo_u16_sdwa v1, v1, s6 dst_sel:DWORD dst_unused:UNUSED_PAD src0_sel:WORD_1 src1_sel:DWORD
	v_sub_u16_e32 v7, v0, v1
	s_waitcnt lgkmcnt(0)
	s_load_dwordx4 s[0:3], s[12:13], 0x0
	v_mov_b32_e32 v5, v4
	buffer_store_dword v5, off, s[48:51], 0 offset:8 ; 4-byte Folded Spill
	s_nop 0
	buffer_store_dword v6, off, s[48:51], 0 offset:12 ; 4-byte Folded Spill
	v_lshlrev_b32_e32 v255, 4, v7
	s_waitcnt lgkmcnt(0)
	v_mad_u64_u32 v[0:1], s[6:7], s2, v4, 0
	v_mad_u64_u32 v[2:3], s[6:7], s0, v7, 0
	s_mul_i32 s6, s1, 0x268
	s_mul_hi_u32 s7, s0, 0x268
	v_mad_u64_u32 v[4:5], s[2:3], s3, v4, v[1:2]
	s_add_i32 s7, s7, s6
	s_mul_i32 s6, s0, 0x268
	v_mad_u64_u32 v[5:6], s[2:3], s1, v7, v[3:4]
	v_mov_b32_e32 v1, v4
	v_lshlrev_b64 v[0:1], 4, v[0:1]
	v_mov_b32_e32 v6, s11
	v_mov_b32_e32 v3, v5
	v_add_co_u32_e32 v4, vcc, s10, v0
	v_addc_co_u32_e32 v5, vcc, v6, v1, vcc
	v_lshlrev_b64 v[0:1], 4, v[2:3]
	v_mov_b32_e32 v2, s17
	v_add_co_u32_e32 v0, vcc, v4, v0
	v_add_co_u32_e64 v144, s[2:3], s16, v255
	v_addc_co_u32_e32 v1, vcc, v5, v1, vcc
	v_addc_co_u32_e64 v3, vcc, 0, v2, s[2:3]
	s_lshl_b64 s[12:13], s[6:7], 4
	v_mov_b32_e32 v2, s13
	v_add_co_u32_e32 v4, vcc, s12, v0
	v_addc_co_u32_e32 v5, vcc, v1, v2, vcc
	s_movk_i32 s6, 0x2000
	global_load_dwordx4 v[26:29], v[0:1], off
	global_load_dwordx4 v[30:33], v[4:5], off
	v_add_co_u32_e32 v0, vcc, s6, v144
	s_mul_hi_u32 s6, s0, 0xfffffe48
	s_mulk_i32 s1, 0xfe48
	s_sub_i32 s6, s6, s0
	s_add_i32 s1, s6, s1
	s_mulk_i32 s0, 0xfe48
	v_addc_co_u32_e32 v1, vcc, 0, v3, vcc
	s_lshl_b64 s[18:19], s[0:1], 4
	global_load_dwordx4 v[18:21], v[0:1], off offset:1664
	v_mov_b32_e32 v0, s19
	v_add_co_u32_e32 v8, vcc, s18, v4
	v_addc_co_u32_e32 v9, vcc, v5, v0, vcc
	v_add_co_u32_e32 v12, vcc, s12, v8
	v_addc_co_u32_e32 v13, vcc, v9, v2, vcc
	s_movk_i32 s0, 0x3000
	v_add_co_u32_e32 v50, vcc, s0, v144
	v_addc_co_u32_e32 v51, vcc, 0, v3, vcc
	v_add_co_u32_e32 v16, vcc, s18, v12
	global_load_dwordx4 v[78:81], v255, s[16:17]
	global_load_dwordx4 v[74:77], v255, s[16:17] offset:2816
	v_addc_co_u32_e32 v17, vcc, v13, v0, vcc
	s_movk_i32 s0, 0x1000
	global_load_dwordx4 v[34:37], v[8:9], off
	global_load_dwordx4 v[38:41], v[12:13], off
	v_add_co_u32_e32 v12, vcc, s0, v144
	global_load_dwordx4 v[8:11], v[50:51], off offset:384
	v_addc_co_u32_e32 v13, vcc, 0, v3, vcc
	global_load_dwordx4 v[42:45], v[16:17], off
	v_add_co_u32_e32 v24, vcc, s12, v16
	buffer_store_dword v3, off, s[48:51], 0 offset:4 ; 4-byte Folded Spill
	global_load_dwordx4 v[3:6], v[12:13], off offset:1536
	v_addc_co_u32_e32 v25, vcc, v17, v2, vcc
	global_load_dwordx4 v[12:15], v[50:51], off offset:3200
	global_load_dwordx4 v[46:49], v[24:25], off
	s_movk_i32 s0, 0x58
	v_cmp_gt_u16_e64 s[0:1], s0, v7
	s_waitcnt vmcnt(10)
	v_mul_f64 v[54:55], v[32:33], v[20:21]
	v_mul_f64 v[56:57], v[30:31], v[20:21]
	v_fma_f64 v[30:31], v[30:31], v[18:19], v[54:55]
	s_waitcnt vmcnt(9)
	v_mul_f64 v[50:51], v[28:29], v[80:81]
	v_mul_f64 v[52:53], v[26:27], v[80:81]
	s_waitcnt vmcnt(7)
	v_mul_f64 v[58:59], v[36:37], v[76:77]
	v_mul_f64 v[60:61], v[34:35], v[76:77]
	s_waitcnt vmcnt(5)
	v_mul_f64 v[62:63], v[40:41], v[10:11]
	v_fma_f64 v[26:27], v[26:27], v[78:79], v[50:51]
	buffer_store_dword v78, off, s[48:51], 0 offset:96 ; 4-byte Folded Spill
	s_nop 0
	buffer_store_dword v79, off, s[48:51], 0 offset:100 ; 4-byte Folded Spill
	buffer_store_dword v80, off, s[48:51], 0 offset:104 ; 4-byte Folded Spill
	;; [unrolled: 1-line block ×4, first 2 shown]
	s_nop 0
	buffer_store_dword v19, off, s[48:51], 0 offset:20 ; 4-byte Folded Spill
	buffer_store_dword v20, off, s[48:51], 0 offset:24 ; 4-byte Folded Spill
	;; [unrolled: 1-line block ×3, first 2 shown]
	v_fma_f64 v[34:35], v[34:35], v[74:75], v[58:59]
	buffer_store_dword v74, off, s[48:51], 0 offset:32 ; 4-byte Folded Spill
	s_nop 0
	buffer_store_dword v75, off, s[48:51], 0 offset:36 ; 4-byte Folded Spill
	buffer_store_dword v76, off, s[48:51], 0 offset:40 ; 4-byte Folded Spill
	;; [unrolled: 1-line block ×3, first 2 shown]
	v_mul_f64 v[64:65], v[38:39], v[10:11]
	s_waitcnt vmcnt(14)
	v_mul_f64 v[66:67], v[44:45], v[5:6]
	v_fma_f64 v[38:39], v[38:39], v[8:9], v[62:63]
	buffer_store_dword v8, off, s[48:51], 0 offset:48 ; 4-byte Folded Spill
	s_nop 0
	buffer_store_dword v9, off, s[48:51], 0 offset:52 ; 4-byte Folded Spill
	buffer_store_dword v10, off, s[48:51], 0 offset:56 ; 4-byte Folded Spill
	;; [unrolled: 1-line block ×3, first 2 shown]
	s_waitcnt vmcnt(16)
	v_mul_f64 v[70:71], v[48:49], v[14:15]
	v_mul_f64 v[68:69], v[42:43], v[5:6]
	;; [unrolled: 1-line block ×3, first 2 shown]
	v_fma_f64 v[42:43], v[42:43], v[3:4], v[66:67]
	buffer_store_dword v3, off, s[48:51], 0 offset:64 ; 4-byte Folded Spill
	s_nop 0
	buffer_store_dword v4, off, s[48:51], 0 offset:68 ; 4-byte Folded Spill
	buffer_store_dword v5, off, s[48:51], 0 offset:72 ; 4-byte Folded Spill
	;; [unrolled: 1-line block ×3, first 2 shown]
	v_fma_f64 v[46:47], v[46:47], v[12:13], v[70:71]
	buffer_store_dword v12, off, s[48:51], 0 offset:80 ; 4-byte Folded Spill
	s_nop 0
	buffer_store_dword v13, off, s[48:51], 0 offset:84 ; 4-byte Folded Spill
	buffer_store_dword v14, off, s[48:51], 0 offset:88 ; 4-byte Folded Spill
	;; [unrolled: 1-line block ×3, first 2 shown]
	s_load_dwordx2 s[6:7], s[4:5], 0x38
	s_load_dwordx4 s[8:11], s[14:15], 0x0
	v_fma_f64 v[28:29], v[28:29], v[78:79], -v[52:53]
	v_fma_f64 v[32:33], v[32:33], v[18:19], -v[56:57]
	v_fma_f64 v[36:37], v[36:37], v[74:75], -v[60:61]
	v_fma_f64 v[40:41], v[40:41], v[8:9], -v[64:65]
	v_fma_f64 v[44:45], v[44:45], v[3:4], -v[68:69]
	v_fma_f64 v[48:49], v[48:49], v[12:13], -v[72:73]
	ds_write_b128 v255, v[26:29]
	ds_write_b128 v255, v[30:33] offset:9856
	ds_write_b128 v255, v[34:37] offset:2816
	;; [unrolled: 1-line block ×5, first 2 shown]
	s_and_saveexec_b64 s[14:15], s[0:1]
	s_cbranch_execz .LBB0_3
; %bb.2:
	buffer_load_dword v1, off, s[48:51], 0 offset:4 ; 4-byte Folded Reload
	v_mov_b32_e32 v0, s19
	v_add_co_u32_e32 v32, vcc, s18, v24
	v_addc_co_u32_e32 v33, vcc, v25, v0, vcc
	v_add_co_u32_e32 v28, vcc, 0x2000, v144
	v_mov_b32_e32 v0, s13
	global_load_dwordx4 v[24:27], v[32:33], off
	s_waitcnt vmcnt(1)
	v_addc_co_u32_e32 v29, vcc, 0, v1, vcc
	v_add_co_u32_e32 v40, vcc, s12, v32
	v_addc_co_u32_e32 v41, vcc, v33, v0, vcc
	s_movk_i32 s12, 0x4000
	v_add_co_u32_e32 v42, vcc, s12, v144
	global_load_dwordx4 v[28:31], v[28:29], off offset:256
	v_addc_co_u32_e32 v43, vcc, 0, v1, vcc
	global_load_dwordx4 v[32:35], v[42:43], off offset:1920
	global_load_dwordx4 v[36:39], v[40:41], off
	s_waitcnt vmcnt(2)
	v_mul_f64 v[40:41], v[26:27], v[30:31]
	v_mul_f64 v[30:31], v[24:25], v[30:31]
	s_waitcnt vmcnt(0)
	v_mul_f64 v[42:43], v[38:39], v[34:35]
	v_mul_f64 v[34:35], v[36:37], v[34:35]
	v_fma_f64 v[24:25], v[24:25], v[28:29], v[40:41]
	v_fma_f64 v[26:27], v[26:27], v[28:29], -v[30:31]
	v_fma_f64 v[28:29], v[36:37], v[32:33], v[42:43]
	v_fma_f64 v[30:31], v[38:39], v[32:33], -v[34:35]
	ds_write_b128 v255, v[24:27] offset:8448
	ds_write_b128 v255, v[28:31] offset:18304
.LBB0_3:
	s_or_b64 exec, exec, s[14:15]
	s_waitcnt vmcnt(0) lgkmcnt(0)
	s_barrier
	ds_read_b128 v[24:27], v255
	ds_read_b128 v[28:31], v255 offset:2816
	ds_read_b128 v[52:55], v255 offset:9856
	;; [unrolled: 1-line block ×5, first 2 shown]
                                        ; implicit-def: $vgpr40_vgpr41
                                        ; implicit-def: $vgpr44_vgpr45
	s_and_saveexec_b64 s[12:13], s[0:1]
	s_cbranch_execz .LBB0_5
; %bb.4:
	ds_read_b128 v[40:43], v255 offset:8448
	ds_read_b128 v[44:47], v255 offset:18304
.LBB0_5:
	s_or_b64 exec, exec, s[12:13]
	s_waitcnt lgkmcnt(3)
	v_add_f64 v[52:53], v[24:25], -v[52:53]
	v_add_f64 v[54:55], v[26:27], -v[54:55]
	s_waitcnt lgkmcnt(1)
	v_add_f64 v[48:49], v[28:29], -v[48:49]
	v_add_f64 v[50:51], v[30:31], -v[50:51]
	s_waitcnt lgkmcnt(0)
	v_add_f64 v[56:57], v[36:37], -v[32:33]
	v_add_f64 v[58:59], v[38:39], -v[34:35]
	v_add_f64 v[32:33], v[40:41], -v[44:45]
	v_add_f64 v[34:35], v[42:43], -v[46:47]
	v_fma_f64 v[24:25], v[24:25], 2.0, -v[52:53]
	v_fma_f64 v[26:27], v[26:27], 2.0, -v[54:55]
	;; [unrolled: 1-line block ×8, first 2 shown]
	s_load_dwordx2 s[12:13], s[4:5], 0x8
	v_lshlrev_b32_e32 v68, 1, v7
	s_movk_i32 s4, 0x210
	v_lshlrev_b32_e32 v0, 5, v7
	v_add_u32_e32 v69, 0x160, v68
	v_add_co_u32_e32 v60, vcc, s4, v7
	s_waitcnt lgkmcnt(0)
	s_barrier
	ds_write_b128 v0, v[24:27]
	buffer_store_dword v0, off, s[48:51], 0 offset:116 ; 4-byte Folded Spill
	ds_write_b128 v0, v[52:55] offset:16
	v_lshlrev_b32_e32 v1, 4, v69
	v_lshlrev_b32_e32 v0, 4, v68
	v_add_u32_e32 v70, 0x2c0, v68
	ds_write_b128 v0, v[44:47] offset:5632
	buffer_store_dword v1, off, s[48:51], 0 offset:120 ; 4-byte Folded Spill
	ds_write_b128 v1, v[48:51] offset:16
	v_lshlrev_b32_e32 v1, 4, v70
	ds_write_b128 v0, v[36:39] offset:11264
	v_lshlrev_b32_e32 v0, 5, v60
	buffer_store_dword v1, off, s[48:51], 0 offset:124 ; 4-byte Folded Spill
	ds_write_b128 v1, v[56:59] offset:16
	buffer_store_dword v0, off, s[48:51], 0 offset:172 ; 4-byte Folded Spill
	s_and_saveexec_b64 s[4:5], s[0:1]
	s_cbranch_execz .LBB0_7
; %bb.6:
	v_lshlrev_b32_e32 v0, 5, v60
	ds_write_b128 v0, v[28:31]
	ds_write_b128 v0, v[32:35] offset:16
.LBB0_7:
	s_or_b64 exec, exec, s[4:5]
	s_waitcnt vmcnt(0) lgkmcnt(0)
	s_barrier
	ds_read_b128 v[44:47], v255
	ds_read_b128 v[40:43], v255 offset:2816
	ds_read_b128 v[56:59], v255 offset:9856
	ds_read_b128 v[36:39], v255 offset:5632
	ds_read_b128 v[52:55], v255 offset:12672
	ds_read_b128 v[48:51], v255 offset:15488
	s_and_saveexec_b64 s[4:5], s[0:1]
	s_cbranch_execz .LBB0_9
; %bb.8:
	ds_read_b128 v[28:31], v255 offset:8448
	ds_read_b128 v[32:35], v255 offset:18304
.LBB0_9:
	s_or_b64 exec, exec, s[4:5]
	v_and_b32_e32 v1, 1, v7
	v_lshlrev_b32_e32 v0, 4, v1
	global_load_dwordx4 v[24:27], v0, s[12:13]
	s_movk_i32 s4, 0x1fc
	v_and_or_b32 v0, v68, s4, v1
	v_lshlrev_b32_e32 v0, 4, v0
	s_movk_i32 s4, 0x3fc
	s_waitcnt vmcnt(0) lgkmcnt(0)
	s_barrier
	buffer_store_dword v0, off, s[48:51], 0 offset:128 ; 4-byte Folded Spill
	buffer_store_dword v1, off, s[48:51], 0 offset:168 ; 4-byte Folded Spill
	v_mul_f64 v[61:62], v[58:59], v[26:27]
	v_fma_f64 v[61:62], v[56:57], v[24:25], -v[61:62]
	v_mul_f64 v[56:57], v[56:57], v[26:27]
	v_fma_f64 v[56:57], v[58:59], v[24:25], v[56:57]
	v_mul_f64 v[58:59], v[54:55], v[26:27]
	v_fma_f64 v[58:59], v[52:53], v[24:25], -v[58:59]
	v_mul_f64 v[52:53], v[52:53], v[26:27]
	v_fma_f64 v[52:53], v[54:55], v[24:25], v[52:53]
	;; [unrolled: 4-line block ×3, first 2 shown]
	v_mul_f64 v[48:49], v[34:35], v[26:27]
	v_add_f64 v[50:51], v[42:43], -v[52:53]
	v_add_f64 v[52:53], v[36:37], -v[54:55]
	;; [unrolled: 1-line block ×3, first 2 shown]
	v_fma_f64 v[65:66], v[32:33], v[24:25], -v[48:49]
	v_mul_f64 v[32:33], v[32:33], v[26:27]
	v_add_f64 v[48:49], v[40:41], -v[58:59]
	v_fma_f64 v[42:43], v[42:43], 2.0, -v[50:51]
	v_fma_f64 v[58:59], v[38:39], 2.0, -v[54:55]
	v_fma_f64 v[71:72], v[34:35], v[24:25], v[32:33]
	v_add_f64 v[32:33], v[44:45], -v[61:62]
	v_add_f64 v[34:35], v[46:47], -v[56:57]
	v_fma_f64 v[56:57], v[36:37], 2.0, -v[52:53]
	v_add_f64 v[36:37], v[28:29], -v[65:66]
	v_fma_f64 v[40:41], v[40:41], 2.0, -v[48:49]
	;; [unrolled: 2-line block ×3, first 2 shown]
	v_fma_f64 v[46:47], v[46:47], 2.0, -v[34:35]
	ds_write_b128 v0, v[32:35] offset:32
	v_fma_f64 v[28:29], v[28:29], 2.0, -v[36:37]
	v_fma_f64 v[30:31], v[30:31], 2.0, -v[38:39]
	ds_write_b128 v0, v[44:47]
	v_and_or_b32 v0, v69, s4, v1
	v_lshlrev_b32_e32 v0, 4, v0
	s_movk_i32 s4, 0x7fc
	ds_write_b128 v0, v[40:43]
	buffer_store_dword v0, off, s[48:51], 0 offset:132 ; 4-byte Folded Spill
	ds_write_b128 v0, v[48:51] offset:32
	v_and_or_b32 v0, v70, s4, v1
	v_lshlrev_b32_e32 v0, 4, v0
	ds_write_b128 v0, v[56:59]
	buffer_store_dword v0, off, s[48:51], 0 offset:136 ; 4-byte Folded Spill
	ds_write_b128 v0, v[52:55] offset:32
	v_lshlrev_b32_e32 v0, 1, v60
	buffer_store_dword v0, off, s[48:51], 0 ; 4-byte Folded Spill
	s_and_saveexec_b64 s[4:5], s[0:1]
	s_cbranch_execz .LBB0_11
; %bb.10:
	buffer_load_dword v0, off, s[48:51], 0  ; 4-byte Folded Reload
	s_movk_i32 s14, 0x5fc
	v_and_b32_e32 v1, 1, v7
	s_waitcnt vmcnt(0)
	v_and_or_b32 v0, v0, s14, v1
	v_lshlrev_b32_e32 v0, 4, v0
	ds_write_b128 v0, v[28:31]
	ds_write_b128 v0, v[36:39] offset:32
.LBB0_11:
	s_or_b64 exec, exec, s[4:5]
	s_waitcnt vmcnt(0) lgkmcnt(0)
	s_barrier
	ds_read_b128 v[40:43], v255
	ds_read_b128 v[44:47], v255 offset:2816
	ds_read_b128 v[52:55], v255 offset:9856
	;; [unrolled: 1-line block ×5, first 2 shown]
	s_and_saveexec_b64 s[4:5], s[0:1]
	s_cbranch_execz .LBB0_13
; %bb.12:
	ds_read_b128 v[28:31], v255 offset:8448
	ds_read_b128 v[36:39], v255 offset:18304
.LBB0_13:
	s_or_b64 exec, exec, s[4:5]
	v_and_b32_e32 v2, 3, v7
	v_lshlrev_b32_e32 v0, 4, v2
	global_load_dwordx4 v[32:35], v0, s[12:13] offset:32
	s_movk_i32 s4, 0x1f8
	s_movk_i32 s5, 0x3f8
	;; [unrolled: 1-line block ×3, first 2 shown]
	v_and_or_b32 v0, v68, s4, v2
	v_and_or_b32 v1, v69, s5, v2
	buffer_store_dword v2, off, s[48:51], 0 offset:176 ; 4-byte Folded Spill
	v_and_or_b32 v2, v70, s14, v2
	v_lshlrev_b32_e32 v3, 4, v0
	v_lshlrev_b32_e32 v0, 4, v1
	;; [unrolled: 1-line block ×3, first 2 shown]
	s_waitcnt vmcnt(0) lgkmcnt(0)
	s_barrier
	buffer_store_dword v3, off, s[48:51], 0 offset:144 ; 4-byte Folded Spill
	v_mul_f64 v[64:65], v[54:55], v[34:35]
	v_mul_f64 v[66:67], v[52:53], v[34:35]
	v_mul_f64 v[79:80], v[38:39], v[34:35]
	v_mul_f64 v[81:82], v[36:37], v[34:35]
	v_mul_f64 v[71:72], v[62:63], v[34:35]
	v_mul_f64 v[73:74], v[60:61], v[34:35]
	v_mul_f64 v[75:76], v[58:59], v[34:35]
	v_mul_f64 v[77:78], v[56:57], v[34:35]
	v_fma_f64 v[52:53], v[52:53], v[32:33], -v[64:65]
	v_fma_f64 v[54:55], v[54:55], v[32:33], v[66:67]
	v_fma_f64 v[36:37], v[36:37], v[32:33], -v[79:80]
	v_fma_f64 v[38:39], v[38:39], v[32:33], v[81:82]
	;; [unrolled: 2-line block ×4, first 2 shown]
	v_add_f64 v[52:53], v[40:41], -v[52:53]
	v_add_f64 v[54:55], v[42:43], -v[54:55]
	v_add_f64 v[36:37], v[28:29], -v[36:37]
	v_add_f64 v[38:39], v[30:31], -v[38:39]
	v_add_f64 v[56:57], v[44:45], -v[60:61]
	v_add_f64 v[58:59], v[46:47], -v[62:63]
	v_add_f64 v[60:61], v[48:49], -v[64:65]
	v_add_f64 v[62:63], v[50:51], -v[66:67]
	v_fma_f64 v[40:41], v[40:41], 2.0, -v[52:53]
	v_fma_f64 v[42:43], v[42:43], 2.0, -v[54:55]
	;; [unrolled: 1-line block ×8, first 2 shown]
	ds_write_b128 v3, v[52:55] offset:64
	ds_write_b128 v3, v[40:43]
	ds_write_b128 v0, v[44:47]
	buffer_store_dword v0, off, s[48:51], 0 offset:140 ; 4-byte Folded Spill
	ds_write_b128 v0, v[56:59] offset:64
	ds_write_b128 v1, v[48:51]
	buffer_store_dword v1, off, s[48:51], 0 offset:148 ; 4-byte Folded Spill
	ds_write_b128 v1, v[60:63] offset:64
	s_and_saveexec_b64 s[4:5], s[0:1]
	s_cbranch_execz .LBB0_15
; %bb.14:
	buffer_load_dword v0, off, s[48:51], 0  ; 4-byte Folded Reload
	s_movk_i32 s14, 0x5f8
	v_and_b32_e32 v1, 3, v7
	s_waitcnt vmcnt(0)
	v_and_or_b32 v0, v0, s14, v1
	v_lshlrev_b32_e32 v0, 4, v0
	ds_write_b128 v0, v[28:31]
	ds_write_b128 v0, v[36:39] offset:64
.LBB0_15:
	s_or_b64 exec, exec, s[4:5]
	s_waitcnt vmcnt(0) lgkmcnt(0)
	s_barrier
	ds_read_b128 v[44:47], v255
	ds_read_b128 v[48:51], v255 offset:2816
	ds_read_b128 v[56:59], v255 offset:9856
	;; [unrolled: 1-line block ×5, first 2 shown]
	s_and_saveexec_b64 s[4:5], s[0:1]
	s_cbranch_execz .LBB0_17
; %bb.16:
	ds_read_b128 v[28:31], v255 offset:8448
	ds_read_b128 v[36:39], v255 offset:18304
.LBB0_17:
	s_or_b64 exec, exec, s[4:5]
	v_and_b32_e32 v2, 7, v7
	v_lshlrev_b32_e32 v0, 4, v2
	global_load_dwordx4 v[40:43], v0, s[12:13] offset:96
	s_movk_i32 s4, 0x1f0
	s_movk_i32 s5, 0x3f0
	;; [unrolled: 1-line block ×3, first 2 shown]
	v_and_or_b32 v0, v68, s4, v2
	v_and_or_b32 v1, v69, s5, v2
	buffer_store_dword v2, off, s[48:51], 0 offset:180 ; 4-byte Folded Spill
	v_and_or_b32 v2, v70, s14, v2
	v_lshlrev_b32_e32 v3, 4, v0
	v_lshlrev_b32_e32 v0, 4, v1
	;; [unrolled: 1-line block ×3, first 2 shown]
	s_waitcnt vmcnt(0) lgkmcnt(0)
	s_barrier
	buffer_store_dword v3, off, s[48:51], 0 offset:156 ; 4-byte Folded Spill
	v_mul_f64 v[68:69], v[58:59], v[42:43]
	v_mul_f64 v[70:71], v[56:57], v[42:43]
	;; [unrolled: 1-line block ×8, first 2 shown]
	v_fma_f64 v[56:57], v[56:57], v[40:41], -v[68:69]
	v_fma_f64 v[58:59], v[58:59], v[40:41], v[70:71]
	v_fma_f64 v[64:65], v[64:65], v[40:41], -v[72:73]
	v_fma_f64 v[66:67], v[66:67], v[40:41], v[74:75]
	;; [unrolled: 2-line block ×4, first 2 shown]
	v_add_f64 v[76:77], v[44:45], -v[56:57]
	v_add_f64 v[78:79], v[46:47], -v[58:59]
	;; [unrolled: 1-line block ×8, first 2 shown]
	v_fma_f64 v[80:81], v[44:45], 2.0, -v[76:77]
	v_fma_f64 v[82:83], v[46:47], 2.0, -v[78:79]
	;; [unrolled: 1-line block ×8, first 2 shown]
	ds_write_b128 v3, v[76:79] offset:128
	ds_write_b128 v3, v[80:83]
	ds_write_b128 v0, v[84:87]
	buffer_store_dword v0, off, s[48:51], 0 offset:152 ; 4-byte Folded Spill
	ds_write_b128 v0, v[88:91] offset:128
	ds_write_b128 v1, v[92:95]
	buffer_store_dword v1, off, s[48:51], 0 offset:160 ; 4-byte Folded Spill
	ds_write_b128 v1, v[96:99] offset:128
	s_and_saveexec_b64 s[4:5], s[0:1]
	s_cbranch_execz .LBB0_19
; %bb.18:
	buffer_load_dword v0, off, s[48:51], 0  ; 4-byte Folded Reload
	s_movk_i32 s14, 0x5f0
	v_and_b32_e32 v1, 7, v7
	s_waitcnt vmcnt(0)
	v_and_or_b32 v0, v0, s14, v1
	v_lshlrev_b32_e32 v0, 4, v0
	ds_write_b128 v0, v[104:107]
	ds_write_b128 v0, v[100:103] offset:128
.LBB0_19:
	s_or_b64 exec, exec, s[4:5]
	s_movk_i32 s4, 0x70
	v_cmp_gt_u16_e64 s[4:5], s4, v7
	s_waitcnt vmcnt(0) lgkmcnt(0)
	s_barrier
	s_waitcnt lgkmcnt(0)
                                        ; implicit-def: $vgpr108_vgpr109
                                        ; implicit-def: $vgpr112_vgpr113
                                        ; implicit-def: $vgpr116_vgpr117
	s_and_saveexec_b64 s[14:15], s[4:5]
	s_cbranch_execz .LBB0_21
; %bb.20:
	ds_read_b128 v[80:83], v255
	ds_read_b128 v[76:79], v255 offset:1792
	ds_read_b128 v[84:87], v255 offset:3584
	;; [unrolled: 1-line block ×10, first 2 shown]
.LBB0_21:
	s_or_b64 exec, exec, s[14:15]
	v_mov_b32_e32 v29, s13
	v_and_b32_e32 v0, 15, v7
	s_movk_i32 s14, 0xa0
	v_mov_b32_e32 v28, s12
	v_mad_u64_u32 v[56:57], s[14:15], v0, s14, v[28:29]
	buffer_store_dword v0, off, s[48:51], 0 offset:112 ; 4-byte Folded Spill
	global_load_dwordx4 v[36:39], v[56:57], off offset:224
	global_load_dwordx4 v[28:31], v[56:57], off offset:240
	;; [unrolled: 1-line block ×9, first 2 shown]
	s_nop 0
	global_load_dwordx4 v[56:59], v[56:57], off offset:368
	s_mov_b32 s24, 0xf8bb580b
	s_mov_b32 s25, 0xbfe14ced
	;; [unrolled: 1-line block ×28, first 2 shown]
	v_lshrrev_b32_e32 v0, 4, v7
	s_waitcnt vmcnt(0) lgkmcnt(0)
	s_barrier
	buffer_store_dword v0, off, s[48:51], 0 offset:164 ; 4-byte Folded Spill
	v_mul_f64 v[120:121], v[78:79], v[38:39]
	v_mul_f64 v[122:123], v[76:77], v[38:39]
	;; [unrolled: 1-line block ×8, first 2 shown]
	v_fma_f64 v[140:141], v[76:77], v[36:37], -v[120:121]
	v_mul_f64 v[165:166], v[116:117], v[58:59]
	v_mul_f64 v[163:164], v[118:119], v[58:59]
	v_fma_f64 v[145:146], v[78:79], v[36:37], v[122:123]
	v_mul_f64 v[76:77], v[112:113], v[46:47]
	v_mul_f64 v[157:158], v[114:115], v[46:47]
	v_fma_f64 v[134:135], v[86:87], v[28:29], v[126:127]
	;; [unrolled: 3-line block ×3, first 2 shown]
	v_fma_f64 v[3:4], v[116:117], v[56:57], -v[163:164]
	v_mul_f64 v[149:150], v[106:107], v[70:71]
	v_fma_f64 v[5:6], v[114:115], v[44:45], v[76:77]
	v_mul_f64 v[161:162], v[110:111], v[62:63]
	v_fma_f64 v[124:125], v[84:85], v[28:29], -v[124:125]
	v_fma_f64 v[122:123], v[90:91], v[48:49], v[130:131]
	v_fma_f64 v[116:117], v[94:95], v[52:53], v[136:137]
	v_add_f64 v[167:168], v[145:146], -v[1:2]
	v_fma_f64 v[8:9], v[112:113], v[44:45], -v[157:158]
	v_add_f64 v[157:158], v[140:141], -v[3:4]
	v_fma_f64 v[94:95], v[106:107], v[68:69], v[151:152]
	v_fma_f64 v[20:21], v[110:111], v[60:61], v[155:156]
	v_add_f64 v[151:152], v[140:141], v[3:4]
	v_add_f64 v[165:166], v[134:135], -v[5:6]
	v_mul_f64 v[147:148], v[96:97], v[74:75]
	v_mul_f64 v[10:11], v[167:168], s[24:25]
	;; [unrolled: 1-line block ×3, first 2 shown]
	v_fma_f64 v[120:121], v[88:89], v[48:49], -v[128:129]
	v_fma_f64 v[88:89], v[104:105], v[68:69], -v[149:150]
	v_add_f64 v[175:176], v[145:146], v[1:2]
	v_add_f64 v[155:156], v[124:125], -v[8:9]
	v_mul_f64 v[169:170], v[157:158], s[24:25]
	v_fma_f64 v[86:87], v[108:109], v[60:61], -v[161:162]
	v_add_f64 v[149:150], v[124:125], v[8:9]
	v_add_f64 v[163:164], v[122:123], -v[20:21]
	v_mul_f64 v[14:15], v[165:166], s[22:23]
	v_fma_f64 v[76:77], v[151:152], s[20:21], v[10:11]
	v_mul_f64 v[138:139], v[98:99], v[74:75]
	v_mul_f64 v[153:154], v[102:103], v[66:67]
	v_fma_f64 v[128:129], v[98:99], v[72:73], v[147:148]
	v_add_f64 v[173:174], v[134:135], v[5:6]
	v_mul_f64 v[18:19], v[155:156], s[22:23]
	v_fma_f64 v[78:79], v[175:176], s[20:21], -v[169:170]
	v_fma_f64 v[98:99], v[102:103], v[64:65], v[159:160]
	v_add_f64 v[147:148], v[120:121], v[86:87]
	v_mul_f64 v[12:13], v[163:164], s[14:15]
	v_fma_f64 v[104:105], v[149:150], s[18:19], v[14:15]
	v_add_f64 v[76:77], v[80:81], v[76:77]
	v_add_f64 v[193:194], v[120:121], -v[86:87]
	v_fma_f64 v[118:119], v[92:93], v[52:53], -v[132:133]
	v_fma_f64 v[142:143], v[100:101], v[64:65], -v[153:154]
	;; [unrolled: 1-line block ×3, first 2 shown]
	v_add_f64 v[78:79], v[82:83], v[78:79]
	v_add_f64 v[207:208], v[122:123], v[20:21]
	v_add_f64 v[201:202], v[116:117], -v[98:99]
	v_add_f64 v[76:77], v[104:105], v[76:77]
	v_fma_f64 v[104:105], v[147:148], s[26:27], v[12:13]
	v_mul_f64 v[171:172], v[193:194], s[14:15]
	v_add_f64 v[187:188], v[118:119], v[142:143]
	v_add_f64 v[189:190], v[118:119], -v[142:143]
	v_add_f64 v[78:79], v[106:107], v[78:79]
	v_fma_f64 v[92:93], v[96:97], v[72:73], -v[138:139]
	v_mul_f64 v[84:85], v[201:202], s[30:31]
	v_add_f64 v[205:206], v[116:117], v[98:99]
	v_add_f64 v[76:77], v[104:105], v[76:77]
	v_fma_f64 v[104:105], v[207:208], s[26:27], -v[171:172]
	v_add_f64 v[215:216], v[128:129], -v[94:95]
	v_mul_f64 v[100:101], v[189:190], s[30:31]
	v_add_f64 v[213:214], v[128:129], v[94:95]
	v_add_f64 v[199:200], v[92:93], v[88:89]
	v_add_f64 v[203:204], v[92:93], -v[88:89]
	v_mul_f64 v[96:97], v[167:168], s[22:23]
	v_mul_f64 v[179:180], v[165:166], s[30:31]
	v_add_f64 v[78:79], v[104:105], v[78:79]
	v_fma_f64 v[104:105], v[187:188], s[28:29], v[84:85]
	v_mul_f64 v[102:103], v[215:216], s[38:39]
	v_mul_f64 v[191:192], v[157:158], s[22:23]
	;; [unrolled: 1-line block ×5, first 2 shown]
	v_fma_f64 v[106:107], v[149:150], s[28:29], v[179:180]
	v_mul_f64 v[183:184], v[193:194], s[42:43]
	v_add_f64 v[76:77], v[104:105], v[76:77]
	v_fma_f64 v[104:105], v[205:206], s[28:29], -v[100:101]
	v_mul_f64 v[195:196], v[201:202], s[36:37]
	v_fma_f64 v[108:109], v[173:174], s[28:29], -v[185:186]
	v_mul_f64 v[209:210], v[189:190], s[36:37]
	v_mul_f64 v[197:198], v[215:216], s[46:47]
	;; [unrolled: 1-line block ×5, first 2 shown]
	v_add_f64 v[78:79], v[104:105], v[78:79]
	v_fma_f64 v[104:105], v[199:200], s[34:35], v[102:103]
	v_mul_f64 v[233:234], v[157:158], s[14:15]
	v_mul_f64 v[235:236], v[155:156], s[42:43]
	;; [unrolled: 1-line block ×5, first 2 shown]
	v_fma_f64 v[110:111], v[149:150], s[34:35], v[217:218]
	v_mul_f64 v[229:230], v[189:190], s[24:25]
	v_add_f64 v[76:77], v[104:105], v[76:77]
	v_fma_f64 v[104:105], v[213:214], s[34:35], -v[132:133]
	v_fma_f64 v[112:113], v[173:174], s[34:35], -v[235:236]
	v_mul_f64 v[225:226], v[215:216], s[30:31]
	v_mul_f64 v[227:228], v[203:204], s[30:31]
	;; [unrolled: 1-line block ×6, first 2 shown]
	v_add_f64 v[78:79], v[104:105], v[78:79]
	v_fma_f64 v[104:105], v[151:152], s[18:19], v[96:97]
	v_mul_f64 v[243:244], v[163:164], s[24:25]
	v_mul_f64 v[253:254], v[193:194], s[24:25]
	;; [unrolled: 1-line block ×3, first 2 shown]
	v_fma_f64 v[114:115], v[149:150], s[26:27], v[237:238]
	v_mul_f64 v[249:250], v[189:190], s[38:39]
	v_fma_f64 v[126:127], v[173:174], s[26:27], -v[251:252]
	v_mul_f64 v[245:246], v[215:216], s[44:45]
	v_add_f64 v[104:105], v[80:81], v[104:105]
	v_add_f64 v[104:105], v[106:107], v[104:105]
	v_fma_f64 v[106:107], v[175:176], s[18:19], -v[191:192]
	v_add_f64 v[106:107], v[82:83], v[106:107]
	v_add_f64 v[106:107], v[108:109], v[106:107]
	v_fma_f64 v[108:109], v[147:148], s[34:35], v[181:182]
	v_add_f64 v[104:105], v[108:109], v[104:105]
	v_fma_f64 v[108:109], v[207:208], s[34:35], -v[183:184]
	v_add_f64 v[106:107], v[108:109], v[106:107]
	v_fma_f64 v[108:109], v[187:188], s[26:27], v[195:196]
	v_add_f64 v[104:105], v[108:109], v[104:105]
	v_fma_f64 v[108:109], v[205:206], s[26:27], -v[209:210]
	;; [unrolled: 4-line block ×3, first 2 shown]
	v_add_f64 v[106:107], v[108:109], v[106:107]
	v_fma_f64 v[108:109], v[151:152], s[26:27], v[219:220]
	v_add_f64 v[108:109], v[80:81], v[108:109]
	v_add_f64 v[108:109], v[110:111], v[108:109]
	v_fma_f64 v[110:111], v[175:176], s[26:27], -v[233:234]
	v_add_f64 v[110:111], v[82:83], v[110:111]
	v_add_f64 v[110:111], v[112:113], v[110:111]
	v_fma_f64 v[112:113], v[147:148], s[18:19], v[223:224]
	v_add_f64 v[108:109], v[112:113], v[108:109]
	v_fma_f64 v[112:113], v[207:208], s[18:19], -v[231:232]
	v_add_f64 v[110:111], v[112:113], v[110:111]
	v_fma_f64 v[112:113], v[187:188], s[20:21], v[221:222]
	v_add_f64 v[108:109], v[112:113], v[108:109]
	v_fma_f64 v[112:113], v[205:206], s[20:21], -v[229:230]
	;; [unrolled: 4-line block ×3, first 2 shown]
	v_add_f64 v[110:111], v[112:113], v[110:111]
	v_fma_f64 v[112:113], v[151:152], s[28:29], v[239:240]
	v_add_f64 v[112:113], v[80:81], v[112:113]
	v_add_f64 v[112:113], v[114:115], v[112:113]
	v_fma_f64 v[114:115], v[175:176], s[28:29], -v[247:248]
	v_add_f64 v[114:115], v[82:83], v[114:115]
	v_add_f64 v[114:115], v[126:127], v[114:115]
	v_fma_f64 v[126:127], v[147:148], s[20:21], v[243:244]
	v_add_f64 v[112:113], v[126:127], v[112:113]
	v_fma_f64 v[126:127], v[207:208], s[20:21], -v[253:254]
	v_add_f64 v[114:115], v[126:127], v[114:115]
	v_fma_f64 v[126:127], v[187:188], s[34:35], v[241:242]
	v_add_f64 v[112:113], v[126:127], v[112:113]
	v_fma_f64 v[126:127], v[205:206], s[34:35], -v[249:250]
	v_add_f64 v[114:115], v[126:127], v[114:115]
	v_fma_f64 v[126:127], v[199:200], s[18:19], v[245:246]
	v_add_f64 v[112:113], v[126:127], v[112:113]
	v_mul_f64 v[126:127], v[203:204], s[44:45]
	v_fma_f64 v[130:131], v[213:214], s[18:19], -v[126:127]
	v_add_f64 v[114:115], v[130:131], v[114:115]
	s_and_saveexec_b64 s[40:41], s[4:5]
	s_cbranch_execz .LBB0_23
; %bb.22:
	v_mul_f64 v[130:131], v[151:152], s[20:21]
	v_mul_f64 v[167:168], v[167:168], s[38:39]
	;; [unrolled: 1-line block ×8, first 2 shown]
	buffer_store_dword v130, off, s[48:51], 0 offset:196 ; 4-byte Folded Spill
	s_nop 0
	buffer_store_dword v131, off, s[48:51], 0 offset:200 ; 4-byte Folded Spill
	v_mul_f64 v[130:131], v[175:176], s[20:21]
	v_mul_f64 v[16:17], v[147:148], s[20:21]
	;; [unrolled: 1-line block ×4, first 2 shown]
	v_add_f64 v[136:137], v[136:137], -v[239:240]
	v_mul_f64 v[22:23], v[207:208], s[34:35]
	v_mul_f64 v[90:91], v[187:188], s[20:21]
	;; [unrolled: 1-line block ×3, first 2 shown]
	buffer_store_dword v130, off, s[48:51], 0 offset:220 ; 4-byte Folded Spill
	s_nop 0
	buffer_store_dword v131, off, s[48:51], 0 offset:224 ; 4-byte Folded Spill
	v_mul_f64 v[130:131], v[151:152], s[18:19]
	v_add_f64 v[16:17], v[16:17], -v[243:244]
	buffer_store_dword v130, off, s[48:51], 0 offset:204 ; 4-byte Folded Spill
	s_nop 0
	buffer_store_dword v131, off, s[48:51], 0 offset:208 ; 4-byte Folded Spill
	v_mul_f64 v[130:131], v[151:152], s[26:27]
	v_add_f64 v[136:137], v[80:81], v[136:137]
	buffer_store_dword v130, off, s[48:51], 0 offset:252 ; 4-byte Folded Spill
	s_nop 0
	buffer_store_dword v131, off, s[48:51], 0 offset:256 ; 4-byte Folded Spill
	v_mul_f64 v[130:131], v[149:150], s[18:19]
	buffer_store_dword v132, off, s[48:51], 0 offset:188 ; 4-byte Folded Spill
	s_nop 0
	buffer_store_dword v133, off, s[48:51], 0 offset:192 ; 4-byte Folded Spill
	v_mul_f64 v[132:133], v[175:176], s[28:29]
	v_mul_f64 v[175:176], v[175:176], s[34:35]
	buffer_store_dword v130, off, s[48:51], 0 offset:212 ; 4-byte Folded Spill
	s_nop 0
	buffer_store_dword v131, off, s[48:51], 0 offset:216 ; 4-byte Folded Spill
	v_mul_f64 v[130:131], v[173:174], s[18:19]
	v_add_f64 v[132:133], v[247:248], v[132:133]
	v_mul_f64 v[247:248], v[213:214], s[20:21]
	buffer_store_dword v130, off, s[48:51], 0 offset:260 ; 4-byte Folded Spill
	s_nop 0
	buffer_store_dword v131, off, s[48:51], 0 offset:264 ; 4-byte Folded Spill
	v_mul_f64 v[130:131], v[149:150], s[28:29]
	v_add_f64 v[132:133], v[82:83], v[132:133]
	buffer_store_dword v130, off, s[48:51], 0 offset:276 ; 4-byte Folded Spill
	s_nop 0
	buffer_store_dword v131, off, s[48:51], 0 offset:280 ; 4-byte Folded Spill
	buffer_store_dword v3, off, s[48:51], 0 offset:228 ; 4-byte Folded Spill
	s_nop 0
	buffer_store_dword v4, off, s[48:51], 0 offset:232 ; 4-byte Folded Spill
	;; [unrolled: 3-line block ×3, first 2 shown]
	v_mul_f64 v[130:131], v[147:148], s[26:27]
	buffer_store_dword v7, off, s[48:51], 0 offset:184 ; 4-byte Folded Spill
	buffer_store_dword v8, off, s[48:51], 0 offset:244 ; 4-byte Folded Spill
	s_nop 0
	buffer_store_dword v9, off, s[48:51], 0 offset:248 ; 4-byte Folded Spill
	buffer_store_dword v10, off, s[48:51], 0 offset:300 ; 4-byte Folded Spill
	s_nop 0
	;; [unrolled: 3-line block ×4, first 2 shown]
	buffer_store_dword v15, off, s[48:51], 0 offset:328 ; 4-byte Folded Spill
	v_mul_f64 v[12:13], v[173:174], s[20:21]
	v_fma_f64 v[14:15], v[157:158], s[42:43], v[175:176]
	buffer_store_dword v130, off, s[48:51], 0 offset:284 ; 4-byte Folded Spill
	s_nop 0
	buffer_store_dword v131, off, s[48:51], 0 offset:288 ; 4-byte Folded Spill
	v_mul_f64 v[130:131], v[207:208], s[26:27]
	v_fma_f64 v[157:158], v[157:158], s[38:39], v[175:176]
	v_mul_f64 v[4:5], v[173:174], s[28:29]
	v_mul_f64 v[6:7], v[149:150], s[34:35]
	;; [unrolled: 1-line block ×5, first 2 shown]
	v_add_f64 v[14:15], v[82:83], v[14:15]
	buffer_store_dword v130, off, s[48:51], 0 offset:292 ; 4-byte Folded Spill
	s_nop 0
	buffer_store_dword v131, off, s[48:51], 0 offset:296 ; 4-byte Folded Spill
	v_mul_f64 v[130:131], v[147:148], s[34:35]
	v_fma_f64 v[175:176], v[147:148], s[28:29], v[163:164]
	v_add_f64 v[4:5], v[185:186], v[4:5]
	v_add_f64 v[8:9], v[235:236], v[8:9]
	v_add_f64 v[10:11], v[10:11], -v[237:238]
	v_add_f64 v[173:174], v[251:252], v[173:174]
	v_mul_f64 v[251:252], v[213:214], s[28:29]
	v_add_f64 v[6:7], v[6:7], -v[217:218]
	buffer_store_dword v130, off, s[48:51], 0 offset:308 ; 4-byte Folded Spill
	s_nop 0
	buffer_store_dword v131, off, s[48:51], 0 offset:312 ; 4-byte Folded Spill
	buffer_store_dword v20, off, s[48:51], 0 offset:332 ; 4-byte Folded Spill
	s_nop 0
	buffer_store_dword v21, off, s[48:51], 0 offset:336 ; 4-byte Folded Spill
	;; [unrolled: 3-line block ×3, first 2 shown]
	v_fma_f64 v[2:3], v[151:152], s[34:35], v[167:168]
	buffer_store_dword v84, off, s[48:51], 0 offset:348 ; 4-byte Folded Spill
	s_nop 0
	buffer_store_dword v85, off, s[48:51], 0 offset:352 ; 4-byte Folded Spill
	buffer_store_dword v102, off, s[48:51], 0 offset:340 ; 4-byte Folded Spill
	s_nop 0
	buffer_store_dword v103, off, s[48:51], 0 offset:344 ; 4-byte Folded Spill
	v_mov_b32_e32 v103, v99
	v_mov_b32_e32 v102, v98
	;; [unrolled: 1-line block ×4, first 2 shown]
	v_fma_f64 v[18:19], v[149:150], s[20:21], v[165:166]
	v_add_f64 v[2:3], v[80:81], v[2:3]
	v_fma_f64 v[151:152], v[151:152], s[34:35], -v[167:168]
	v_fma_f64 v[20:21], v[155:156], s[24:25], v[12:13]
	s_mov_b32 s25, 0x3fe82f19
	s_mov_b32 s24, s30
	v_fma_f64 v[0:1], v[193:194], s[24:25], v[159:160]
	v_fma_f64 v[12:13], v[155:156], s[46:47], v[12:13]
	v_add_f64 v[155:156], v[82:83], v[157:158]
	v_add_f64 v[2:3], v[18:19], v[2:3]
	v_fma_f64 v[159:160], v[193:194], s[30:31], v[159:160]
	v_mul_f64 v[193:194], v[201:202], s[44:45]
	v_fma_f64 v[149:150], v[149:150], s[20:21], -v[165:166]
	v_add_f64 v[151:152], v[80:81], v[151:152]
	v_add_f64 v[14:15], v[20:21], v[14:15]
	v_mul_f64 v[20:21], v[147:148], s[18:19]
	v_add_f64 v[12:13], v[12:13], v[155:156]
	v_add_f64 v[2:3], v[175:176], v[2:3]
	v_fma_f64 v[147:148], v[147:148], s[28:29], -v[163:164]
	v_fma_f64 v[155:156], v[187:188], s[18:19], v[193:194]
	v_mul_f64 v[167:168], v[187:188], s[34:35]
	v_add_f64 v[149:150], v[149:150], v[151:152]
	v_add_f64 v[132:133], v[173:174], v[132:133]
	v_fma_f64 v[173:174], v[199:200], s[26:27], v[215:216]
	v_add_f64 v[12:13], v[159:160], v[12:13]
	v_fma_f64 v[159:160], v[187:188], s[18:19], -v[193:194]
	v_add_f64 v[10:11], v[10:11], v[136:137]
	v_add_f64 v[2:3], v[155:156], v[2:3]
	v_mul_f64 v[84:85], v[207:208], s[18:19]
	v_add_f64 v[147:148], v[147:148], v[149:150]
	v_add_f64 v[0:1], v[0:1], v[14:15]
	v_mul_f64 v[14:15], v[207:208], s[20:21]
	v_mov_b32_e32 v131, v87
	v_mov_b32_e32 v130, v86
	v_add_f64 v[10:11], v[16:17], v[10:11]
	v_fma_f64 v[86:87], v[189:190], s[22:23], v[161:162]
	v_mul_f64 v[157:158], v[205:206], s[34:35]
	v_add_f64 v[159:160], v[159:160], v[147:148]
	v_add_f64 v[147:148], v[173:174], v[2:3]
	v_add_f64 v[2:3], v[167:168], -v[241:242]
	v_mul_f64 v[151:152], v[213:214], s[26:27]
	v_add_f64 v[14:15], v[253:254], v[14:15]
	v_mul_f64 v[18:19], v[205:206], s[28:29]
	v_add_f64 v[0:1], v[86:87], v[0:1]
	v_mul_f64 v[86:87], v[205:206], s[26:27]
	v_mul_f64 v[175:176], v[205:206], s[20:21]
	;; [unrolled: 1-line block ×3, first 2 shown]
	v_add_f64 v[2:3], v[2:3], v[10:11]
	v_add_f64 v[10:11], v[231:232], v[84:85]
	buffer_load_dword v84, off, s[48:51], 0 offset:252 ; 4-byte Folded Reload
	buffer_load_dword v85, off, s[48:51], 0 offset:256 ; 4-byte Folded Reload
	v_mul_f64 v[155:156], v[213:214], s[18:19]
	v_fma_f64 v[213:214], v[203:204], s[36:37], v[151:152]
	v_add_f64 v[149:150], v[249:250], v[157:158]
	v_add_f64 v[14:15], v[14:15], v[132:133]
	v_fma_f64 v[161:162], v[189:190], s[44:45], v[161:162]
	v_fma_f64 v[132:133], v[203:204], s[14:15], v[151:152]
	v_add_f64 v[16:17], v[82:83], v[145:146]
	v_add_f64 v[18:19], v[100:101], v[18:19]
	;; [unrolled: 1-line block ×3, first 2 shown]
	v_mul_f64 v[201:202], v[199:200], s[34:35]
	v_add_f64 v[20:21], v[20:21], -v[223:224]
	v_add_f64 v[14:15], v[149:150], v[14:15]
	v_add_f64 v[149:150], v[213:214], v[0:1]
	v_add_f64 v[0:1], v[233:234], v[153:154]
	v_add_f64 v[12:13], v[161:162], v[12:13]
	v_mul_f64 v[165:166], v[199:200], s[20:21]
	v_mul_f64 v[163:164], v[199:200], s[28:29]
	;; [unrolled: 1-line block ×4, first 2 shown]
	v_add_f64 v[126:127], v[126:127], v[14:15]
	v_add_f64 v[14:15], v[191:192], v[138:139]
	;; [unrolled: 1-line block ×5, first 2 shown]
	v_fma_f64 v[151:152], v[199:200], s[26:27], -v[215:216]
	v_add_f64 v[12:13], v[253:254], -v[245:246]
	v_add_f64 v[0:1], v[8:9], v[0:1]
	v_add_f64 v[8:9], v[82:83], v[14:15]
	;; [unrolled: 1-line block ×11, first 2 shown]
	buffer_load_dword v86, off, s[48:51], 0 offset:220 ; 4-byte Folded Reload
	buffer_load_dword v87, off, s[48:51], 0 offset:224 ; 4-byte Folded Reload
	v_add_f64 v[8:9], v[14:15], v[122:123]
	v_add_f64 v[14:15], v[16:17], v[120:121]
	;; [unrolled: 1-line block ×7, first 2 shown]
	v_add_f64 v[14:15], v[163:164], -v[225:226]
	v_add_f64 v[4:5], v[22:23], v[4:5]
	v_add_f64 v[8:9], v[8:9], v[128:129]
	;; [unrolled: 1-line block ×7, first 2 shown]
	s_waitcnt vmcnt(2)
	v_add_f64 v[84:85], v[84:85], -v[219:220]
	v_add_f64 v[10:11], v[10:11], v[130:131]
	v_add_f64 v[84:85], v[80:81], v[84:85]
	;; [unrolled: 1-line block ×3, first 2 shown]
	v_add_f64 v[84:85], v[90:91], -v[221:222]
	buffer_load_dword v22, off, s[48:51], 0 offset:196 ; 4-byte Folded Reload
	buffer_load_dword v23, off, s[48:51], 0 offset:200 ; 4-byte Folded Reload
	;; [unrolled: 1-line block ×4, first 2 shown]
	v_add_f64 v[6:7], v[20:21], v[6:7]
	v_add_f64 v[20:21], v[211:212], v[247:248]
	;; [unrolled: 1-line block ×3, first 2 shown]
	s_waitcnt vmcnt(4)
	v_add_f64 v[86:87], v[169:170], v[86:87]
	v_add_f64 v[82:83], v[82:83], v[86:87]
	s_waitcnt vmcnt(0)
	v_add_f64 v[22:23], v[22:23], -v[90:91]
	buffer_load_dword v90, off, s[48:51], 0 offset:204 ; 4-byte Folded Reload
	buffer_load_dword v91, off, s[48:51], 0 offset:208 ; 4-byte Folded Reload
	;; [unrolled: 1-line block ×4, first 2 shown]
	v_add_f64 v[22:23], v[80:81], v[22:23]
	s_waitcnt vmcnt(2)
	v_add_f64 v[90:91], v[90:91], -v[96:97]
	s_waitcnt vmcnt(0)
	v_add_f64 v[116:117], v[92:93], -v[179:180]
	buffer_load_dword v92, off, s[48:51], 0 offset:260 ; 4-byte Folded Reload
	buffer_load_dword v93, off, s[48:51], 0 offset:264 ; 4-byte Folded Reload
	v_add_f64 v[80:81], v[80:81], v[90:91]
	v_add_f64 v[80:81], v[116:117], v[80:81]
	s_waitcnt vmcnt(0)
	v_add_f64 v[118:119], v[98:99], v[92:93]
	buffer_load_dword v86, off, s[48:51], 0 offset:212 ; 4-byte Folded Reload
	buffer_load_dword v87, off, s[48:51], 0 offset:216 ; 4-byte Folded Reload
	;; [unrolled: 1-line block ×6, first 2 shown]
	v_add_f64 v[82:83], v[118:119], v[82:83]
	s_waitcnt vmcnt(2)
	v_add_f64 v[86:87], v[86:87], -v[92:93]
	s_waitcnt vmcnt(0)
	v_add_f64 v[90:91], v[88:89], -v[181:182]
	buffer_load_dword v88, off, s[48:51], 0 offset:292 ; 4-byte Folded Reload
	buffer_load_dword v89, off, s[48:51], 0 offset:296 ; 4-byte Folded Reload
	v_add_f64 v[22:23], v[86:87], v[22:23]
	v_add_f64 v[80:81], v[90:91], v[80:81]
	v_add_f64 v[86:87], v[177:178], -v[195:196]
	v_add_f64 v[80:81], v[86:87], v[80:81]
	s_waitcnt vmcnt(0)
	v_add_f64 v[96:97], v[171:172], v[88:89]
	buffer_load_dword v88, off, s[48:51], 0 offset:268 ; 4-byte Folded Reload
	buffer_load_dword v89, off, s[48:51], 0 offset:272 ; 4-byte Folded Reload
	;; [unrolled: 1-line block ×4, first 2 shown]
	v_add_f64 v[82:83], v[96:97], v[82:83]
	v_add_f64 v[18:19], v[18:19], v[82:83]
	s_waitcnt vmcnt(0)
	v_add_f64 v[98:99], v[92:93], -v[88:89]
	buffer_load_dword v88, off, s[48:51], 0 offset:348 ; 4-byte Folded Reload
	buffer_load_dword v89, off, s[48:51], 0 offset:352 ; 4-byte Folded Reload
	;; [unrolled: 1-line block ×8, first 2 shown]
	v_add_f64 v[22:23], v[98:99], v[22:23]
	v_add_f64 v[98:99], v[165:166], -v[197:198]
	v_add_f64 v[86:87], v[98:99], v[80:81]
	v_add_f64 v[80:81], v[14:15], v[6:7]
	s_waitcnt vmcnt(6)
	v_add_f64 v[88:89], v[207:208], -v[88:89]
	s_waitcnt vmcnt(4)
	v_add_f64 v[8:9], v[8:9], v[92:93]
	s_waitcnt vmcnt(2)
	v_add_f64 v[90:91], v[90:91], v[205:206]
	s_waitcnt vmcnt(0)
	v_add_f64 v[100:101], v[201:202], -v[82:83]
	buffer_load_dword v82, off, s[48:51], 0 offset:236 ; 4-byte Folded Reload
	buffer_load_dword v83, off, s[48:51], 0 offset:240 ; 4-byte Folded Reload
	v_add_f64 v[22:23], v[88:89], v[22:23]
	v_add_f64 v[88:89], v[20:21], v[4:5]
	;; [unrolled: 1-line block ×4, first 2 shown]
	s_waitcnt vmcnt(0)
	v_add_f64 v[8:9], v[8:9], v[82:83]
	buffer_load_dword v82, off, s[48:51], 0 offset:244 ; 4-byte Folded Reload
	buffer_load_dword v83, off, s[48:51], 0 offset:248 ; 4-byte Folded Reload
	s_waitcnt vmcnt(0)
	v_add_f64 v[10:11], v[10:11], v[82:83]
	v_add_f64 v[82:83], v[16:17], v[0:1]
	buffer_load_dword v0, off, s[48:51], 0 offset:316 ; 4-byte Folded Reload
	buffer_load_dword v1, off, s[48:51], 0 offset:320 ; 4-byte Folded Reload
	s_waitcnt vmcnt(0)
	v_add_f64 v[96:97], v[8:9], v[0:1]
	buffer_load_dword v0, off, s[48:51], 0 offset:228 ; 4-byte Folded Reload
	buffer_load_dword v1, off, s[48:51], 0 offset:232 ; 4-byte Folded Reload
	;; [unrolled: 1-line block ×3, first 2 shown]
	s_waitcnt vmcnt(1)
	v_add_f64 v[94:95], v[10:11], v[0:1]
	buffer_load_dword v0, off, s[48:51], 0 offset:164 ; 4-byte Folded Reload
	buffer_load_dword v1, off, s[48:51], 0 offset:112 ; 4-byte Folded Reload
	s_waitcnt vmcnt(1)
	v_mul_u32_u24_e32 v0, 0xb0, v0
	s_waitcnt vmcnt(0)
	v_or_b32_e32 v0, v0, v1
	v_lshlrev_b32_e32 v0, 4, v0
	ds_write_b128 v0, v[94:97]
	ds_write_b128 v0, v[90:93] offset:256
	ds_write_b128 v0, v[86:89] offset:512
	ds_write_b128 v0, v[80:83] offset:768
	ds_write_b128 v0, v[124:127] offset:1024
	ds_write_b128 v0, v[155:158] offset:1280
	ds_write_b128 v0, v[147:150] offset:1536
	ds_write_b128 v0, v[112:115] offset:1792
	ds_write_b128 v0, v[108:111] offset:2048
	ds_write_b128 v0, v[104:107] offset:2304
	ds_write_b128 v0, v[76:79] offset:2560
.LBB0_23:
	s_or_b64 exec, exec, s[40:41]
	v_mov_b32_e32 v0, s12
	s_movk_i32 s14, 0x60
	v_mov_b32_e32 v1, s13
	v_mad_u64_u32 v[0:1], s[12:13], v7, s14, v[0:1]
	s_waitcnt vmcnt(0) lgkmcnt(0)
	s_barrier
	global_load_dwordx4 v[92:95], v[0:1], off offset:2784
	global_load_dwordx4 v[88:91], v[0:1], off offset:2800
	;; [unrolled: 1-line block ×6, first 2 shown]
	ds_read_b128 v[116:119], v255
	ds_read_b128 v[120:123], v255 offset:2816
	ds_read_b128 v[124:127], v255 offset:5632
	;; [unrolled: 1-line block ×6, first 2 shown]
	v_mov_b32_e32 v175, v7
	s_mov_b32 s12, 0x36b3c0b5
	s_mov_b32 s22, 0xe976ee23
	;; [unrolled: 1-line block ×16, first 2 shown]
	s_waitcnt vmcnt(5) lgkmcnt(5)
	v_mul_f64 v[0:1], v[122:123], v[94:95]
	v_mul_f64 v[2:3], v[120:121], v[94:95]
	s_waitcnt vmcnt(4) lgkmcnt(4)
	v_mul_f64 v[4:5], v[126:127], v[90:91]
	v_mul_f64 v[6:7], v[124:125], v[90:91]
	;; [unrolled: 3-line block ×3, first 2 shown]
	s_waitcnt vmcnt(0)
	v_mul_f64 v[20:21], v[138:139], v[102:103]
	v_mul_f64 v[22:23], v[136:137], v[102:103]
	;; [unrolled: 1-line block ×6, first 2 shown]
	v_fma_f64 v[0:1], v[120:121], v[92:93], -v[0:1]
	v_fma_f64 v[2:3], v[122:123], v[92:93], v[2:3]
	v_fma_f64 v[4:5], v[124:125], v[88:89], -v[4:5]
	v_fma_f64 v[6:7], v[126:127], v[88:89], v[6:7]
	;; [unrolled: 2-line block ×6, first 2 shown]
	v_add_f64 v[120:121], v[0:1], v[16:17]
	v_add_f64 v[122:123], v[2:3], v[18:19]
	v_add_f64 v[0:1], v[0:1], -v[16:17]
	v_add_f64 v[2:3], v[2:3], -v[18:19]
	v_add_f64 v[16:17], v[4:5], v[20:21]
	v_add_f64 v[18:19], v[6:7], v[22:23]
	v_add_f64 v[4:5], v[4:5], -v[20:21]
	v_add_f64 v[6:7], v[6:7], -v[22:23]
	;; [unrolled: 4-line block ×4, first 2 shown]
	v_add_f64 v[16:17], v[20:21], -v[16:17]
	v_add_f64 v[18:19], v[22:23], -v[18:19]
	v_add_f64 v[128:129], v[8:9], v[4:5]
	v_add_f64 v[130:131], v[10:11], v[6:7]
	v_add_f64 v[132:133], v[8:9], -v[4:5]
	v_add_f64 v[134:135], v[10:11], -v[6:7]
	v_add_f64 v[120:121], v[120:121], -v[20:21]
	v_add_f64 v[122:123], v[122:123], -v[22:23]
	v_add_f64 v[4:5], v[4:5], -v[0:1]
	v_add_f64 v[6:7], v[6:7], -v[2:3]
	v_add_f64 v[12:13], v[20:21], v[12:13]
	v_add_f64 v[14:15], v[22:23], v[14:15]
	v_add_f64 v[8:9], v[0:1], -v[8:9]
	v_add_f64 v[10:11], v[2:3], -v[10:11]
	v_add_f64 v[0:1], v[128:129], v[0:1]
	v_add_f64 v[2:3], v[130:131], v[2:3]
	v_mul_f64 v[128:129], v[16:17], s[12:13]
	v_mul_f64 v[130:131], v[18:19], s[12:13]
	v_mul_f64 v[132:133], v[132:133], s[22:23]
	v_mul_f64 v[134:135], v[134:135], s[22:23]
	v_mul_f64 v[20:21], v[120:121], s[14:15]
	v_mul_f64 v[22:23], v[122:123], s[14:15]
	v_mul_f64 v[136:137], v[4:5], s[18:19]
	v_mul_f64 v[138:139], v[6:7], s[18:19]
	v_add_f64 v[120:121], v[116:117], v[12:13]
	v_add_f64 v[122:123], v[118:119], v[14:15]
	v_fma_f64 v[116:117], v[124:125], s[24:25], -v[128:129]
	v_fma_f64 v[118:119], v[126:127], s[24:25], -v[130:131]
	v_fma_f64 v[128:129], v[8:9], s[26:27], v[132:133]
	v_fma_f64 v[130:131], v[10:11], s[26:27], v[134:135]
	s_mov_b32 s27, 0xbfd5d0dc
	v_fma_f64 v[16:17], v[16:17], s[12:13], v[20:21]
	v_fma_f64 v[18:19], v[18:19], s[12:13], v[22:23]
	s_mov_b32 s25, 0xbfe77f67
	v_fma_f64 v[4:5], v[4:5], s[18:19], -v[132:133]
	v_fma_f64 v[6:7], v[6:7], s[18:19], -v[134:135]
	;; [unrolled: 1-line block ×4, first 2 shown]
	v_fma_f64 v[12:13], v[12:13], s[20:21], v[120:121]
	v_fma_f64 v[14:15], v[14:15], s[20:21], v[122:123]
	v_fma_f64 v[20:21], v[124:125], s[24:25], -v[20:21]
	v_fma_f64 v[22:23], v[126:127], s[24:25], -v[22:23]
	v_fma_f64 v[145:146], v[0:1], s[28:29], v[128:129]
	v_fma_f64 v[147:148], v[2:3], s[28:29], v[130:131]
	;; [unrolled: 1-line block ×6, first 2 shown]
	v_add_f64 v[8:9], v[16:17], v[12:13]
	v_add_f64 v[10:11], v[18:19], v[14:15]
	;; [unrolled: 1-line block ×6, first 2 shown]
	v_mov_b32_e32 v20, s17
	s_movk_i32 s12, 0x4d00
	v_add_f64 v[124:125], v[147:148], v[8:9]
	v_add_f64 v[126:127], v[10:11], -v[145:146]
	v_add_f64 v[128:129], v[2:3], v[16:17]
	v_add_f64 v[130:131], v[18:19], -v[0:1]
	v_add_f64 v[132:133], v[12:13], -v[6:7]
	v_add_f64 v[134:135], v[4:5], v[14:15]
	v_add_f64 v[136:137], v[6:7], v[12:13]
	v_add_f64 v[138:139], v[14:15], -v[4:5]
	v_add_f64 v[140:141], v[16:17], -v[2:3]
	v_add_f64 v[142:143], v[0:1], v[18:19]
	v_add_f64 v[116:117], v[8:9], -v[147:148]
	v_add_f64 v[118:119], v[145:146], v[10:11]
	v_addc_co_u32_e64 v4, vcc, 0, v20, s[2:3]
	ds_write_b128 v255, v[120:123]
	ds_write_b128 v255, v[124:127] offset:2816
	ds_write_b128 v255, v[128:131] offset:5632
	;; [unrolled: 1-line block ×6, first 2 shown]
	v_add_co_u32_e32 v120, vcc, s12, v144
	v_addc_co_u32_e32 v121, vcc, 0, v4, vcc
	s_movk_i32 s12, 0x4000
	v_add_co_u32_e32 v0, vcc, s12, v144
	v_addc_co_u32_e32 v1, vcc, 0, v4, vcc
	s_movk_i32 s2, 0x7000
	;; [unrolled: 3-line block ×3, first 2 shown]
	s_waitcnt lgkmcnt(0)
	s_barrier
	global_load_dwordx4 v[122:125], v[0:1], off offset:3328
	global_load_dwordx4 v[126:129], v[120:121], off offset:2816
	;; [unrolled: 1-line block ×4, first 2 shown]
	v_add_co_u32_e32 v0, vcc, s2, v144
	v_addc_co_u32_e32 v1, vcc, 0, v4, vcc
	s_mov_b32 s2, 0x8000
	global_load_dwordx4 v[138:141], v[0:1], off offset:768
	v_add_co_u32_e32 v0, vcc, s2, v144
	v_addc_co_u32_e32 v1, vcc, 0, v4, vcc
	global_load_dwordx4 v[145:148], v[0:1], off offset:2432
	ds_read_b128 v[149:152], v255
	ds_read_b128 v[153:156], v255 offset:2816
	ds_read_b128 v[157:160], v255 offset:9856
	;; [unrolled: 1-line block ×5, first 2 shown]
	s_waitcnt vmcnt(5) lgkmcnt(5)
	v_mul_f64 v[0:1], v[151:152], v[124:125]
	v_mul_f64 v[2:3], v[149:150], v[124:125]
	s_waitcnt vmcnt(3) lgkmcnt(3)
	v_mul_f64 v[4:5], v[159:160], v[132:133]
	v_mul_f64 v[6:7], v[157:158], v[132:133]
	v_mul_f64 v[8:9], v[155:156], v[128:129]
	v_mul_f64 v[10:11], v[153:154], v[128:129]
	s_waitcnt vmcnt(2) lgkmcnt(1)
	v_mul_f64 v[12:13], v[167:168], v[136:137]
	v_mul_f64 v[14:15], v[165:166], v[136:137]
	s_waitcnt vmcnt(1)
	v_mul_f64 v[16:17], v[163:164], v[140:141]
	v_mul_f64 v[18:19], v[161:162], v[140:141]
	v_fma_f64 v[140:141], v[149:150], v[122:123], -v[0:1]
	v_fma_f64 v[142:143], v[151:152], v[122:123], v[2:3]
	v_fma_f64 v[122:123], v[157:158], v[130:131], -v[4:5]
	s_waitcnt vmcnt(0) lgkmcnt(0)
	v_mul_f64 v[20:21], v[171:172], v[147:148]
	v_mul_f64 v[22:23], v[169:170], v[147:148]
	v_fma_f64 v[124:125], v[159:160], v[130:131], v[6:7]
	v_fma_f64 v[128:129], v[153:154], v[126:127], -v[8:9]
	v_fma_f64 v[130:131], v[155:156], v[126:127], v[10:11]
	v_fma_f64 v[132:133], v[165:166], v[134:135], -v[12:13]
	;; [unrolled: 2-line block ×4, first 2 shown]
	v_fma_f64 v[149:150], v[171:172], v[145:146], v[22:23]
	ds_write_b128 v255, v[140:143]
	ds_write_b128 v255, v[122:125] offset:9856
	ds_write_b128 v255, v[128:131] offset:2816
	;; [unrolled: 1-line block ×5, first 2 shown]
	s_and_saveexec_b64 s[2:3], s[0:1]
	s_cbranch_execz .LBB0_25
; %bb.24:
	v_add_co_u32_e32 v0, vcc, 0x2000, v120
	v_addc_co_u32_e32 v1, vcc, 0, v121, vcc
	global_load_dwordx4 v[122:125], v[0:1], off offset:256
	v_add_co_u32_e32 v0, vcc, s12, v120
	v_addc_co_u32_e32 v1, vcc, 0, v121, vcc
	global_load_dwordx4 v[126:129], v[0:1], off offset:1920
	ds_read_b128 v[130:133], v255 offset:8448
	ds_read_b128 v[134:137], v255 offset:18304
	s_waitcnt vmcnt(1) lgkmcnt(1)
	v_mul_f64 v[0:1], v[132:133], v[124:125]
	v_mul_f64 v[2:3], v[130:131], v[124:125]
	s_waitcnt vmcnt(0) lgkmcnt(0)
	v_mul_f64 v[4:5], v[136:137], v[128:129]
	v_mul_f64 v[6:7], v[134:135], v[128:129]
	v_fma_f64 v[120:121], v[130:131], v[122:123], -v[0:1]
	v_fma_f64 v[122:123], v[132:133], v[122:123], v[2:3]
	v_fma_f64 v[124:125], v[134:135], v[126:127], -v[4:5]
	v_fma_f64 v[126:127], v[136:137], v[126:127], v[6:7]
	ds_write_b128 v255, v[120:123] offset:8448
	ds_write_b128 v255, v[124:127] offset:18304
.LBB0_25:
	s_or_b64 exec, exec, s[2:3]
	s_waitcnt lgkmcnt(0)
	s_barrier
	ds_read_b128 v[124:127], v255
	ds_read_b128 v[128:131], v255 offset:2816
	ds_read_b128 v[140:143], v255 offset:9856
	;; [unrolled: 1-line block ×5, first 2 shown]
	s_and_saveexec_b64 s[2:3], s[0:1]
	s_cbranch_execz .LBB0_27
; %bb.26:
	ds_read_b128 v[116:119], v255 offset:8448
	ds_read_b128 v[112:115], v255 offset:18304
.LBB0_27:
	s_or_b64 exec, exec, s[2:3]
	s_waitcnt lgkmcnt(0)
	s_barrier
	buffer_load_dword v0, off, s[48:51], 0 offset:116 ; 4-byte Folded Reload
	v_add_f64 v[140:141], v[124:125], -v[140:141]
	v_add_f64 v[142:143], v[126:127], -v[142:143]
	;; [unrolled: 1-line block ×8, first 2 shown]
	v_fma_f64 v[124:125], v[124:125], 2.0, -v[140:141]
	v_fma_f64 v[126:127], v[126:127], 2.0, -v[142:143]
	;; [unrolled: 1-line block ×8, first 2 shown]
	s_waitcnt vmcnt(0)
	ds_write_b128 v0, v[124:127]
	ds_write_b128 v0, v[140:143] offset:16
	buffer_load_dword v0, off, s[48:51], 0 offset:120 ; 4-byte Folded Reload
	s_waitcnt vmcnt(0)
	ds_write_b128 v0, v[128:131]
	ds_write_b128 v0, v[136:139] offset:16
	buffer_load_dword v0, off, s[48:51], 0 offset:124 ; 4-byte Folded Reload
	s_waitcnt vmcnt(0)
	ds_write_b128 v0, v[132:135]
	ds_write_b128 v0, v[145:148] offset:16
	s_and_saveexec_b64 s[2:3], s[0:1]
	s_cbranch_execz .LBB0_29
; %bb.28:
	buffer_load_dword v0, off, s[48:51], 0 offset:172 ; 4-byte Folded Reload
	s_waitcnt vmcnt(0)
	ds_write_b128 v0, v[112:115]
	ds_write_b128 v0, v[120:123] offset:16
.LBB0_29:
	s_or_b64 exec, exec, s[2:3]
	s_waitcnt lgkmcnt(0)
	s_barrier
	ds_read_b128 v[124:127], v255
	ds_read_b128 v[128:131], v255 offset:2816
	ds_read_b128 v[116:119], v255 offset:9856
	;; [unrolled: 1-line block ×5, first 2 shown]
	s_and_saveexec_b64 s[2:3], s[0:1]
	s_cbranch_execz .LBB0_31
; %bb.30:
	ds_read_b128 v[112:115], v255 offset:8448
	ds_read_b128 v[120:123], v255 offset:18304
.LBB0_31:
	s_or_b64 exec, exec, s[2:3]
	s_waitcnt lgkmcnt(3)
	v_mul_f64 v[0:1], v[26:27], v[118:119]
	s_waitcnt lgkmcnt(0)
	v_mul_f64 v[12:13], v[26:27], v[122:123]
	v_mul_f64 v[14:15], v[26:27], v[120:121]
	s_barrier
	v_mul_f64 v[2:3], v[26:27], v[116:117]
	v_mul_f64 v[4:5], v[26:27], v[142:143]
	v_fma_f64 v[0:1], v[24:25], v[116:117], v[0:1]
	v_fma_f64 v[12:13], v[24:25], v[120:121], v[12:13]
	v_fma_f64 v[14:15], v[24:25], v[122:123], -v[14:15]
	v_mul_f64 v[6:7], v[26:27], v[140:141]
	v_mul_f64 v[8:9], v[26:27], v[138:139]
	;; [unrolled: 1-line block ×3, first 2 shown]
	v_fma_f64 v[2:3], v[24:25], v[118:119], -v[2:3]
	v_fma_f64 v[4:5], v[24:25], v[140:141], v[4:5]
	v_add_f64 v[120:121], v[124:125], -v[0:1]
	buffer_load_dword v0, off, s[48:51], 0 offset:128 ; 4-byte Folded Reload
	v_add_f64 v[116:117], v[112:113], -v[12:13]
	v_fma_f64 v[6:7], v[24:25], v[142:143], -v[6:7]
	v_fma_f64 v[8:9], v[24:25], v[136:137], v[8:9]
	v_fma_f64 v[10:11], v[24:25], v[138:139], -v[10:11]
	v_add_f64 v[122:123], v[126:127], -v[2:3]
	v_add_f64 v[136:137], v[128:129], -v[4:5]
	v_fma_f64 v[124:125], v[124:125], 2.0, -v[120:121]
	v_add_f64 v[118:119], v[114:115], -v[14:15]
	v_fma_f64 v[24:25], v[112:113], 2.0, -v[116:117]
	v_add_f64 v[138:139], v[130:131], -v[6:7]
	v_add_f64 v[140:141], v[132:133], -v[8:9]
	;; [unrolled: 1-line block ×3, first 2 shown]
	v_fma_f64 v[126:127], v[126:127], 2.0, -v[122:123]
	v_fma_f64 v[128:129], v[128:129], 2.0, -v[136:137]
	s_waitcnt vmcnt(0)
	ds_write_b128 v0, v[124:127]
	ds_write_b128 v0, v[120:123] offset:32
	buffer_load_dword v0, off, s[48:51], 0 offset:132 ; 4-byte Folded Reload
	v_fma_f64 v[130:131], v[130:131], 2.0, -v[138:139]
	v_fma_f64 v[132:133], v[132:133], 2.0, -v[140:141]
	;; [unrolled: 1-line block ×4, first 2 shown]
	s_waitcnt vmcnt(0)
	ds_write_b128 v0, v[128:131]
	ds_write_b128 v0, v[136:139] offset:32
	buffer_load_dword v0, off, s[48:51], 0 offset:136 ; 4-byte Folded Reload
	s_waitcnt vmcnt(0)
	ds_write_b128 v0, v[132:135]
	ds_write_b128 v0, v[140:143] offset:32
	s_and_saveexec_b64 s[2:3], s[0:1]
	s_cbranch_execz .LBB0_33
; %bb.32:
	buffer_load_dword v0, off, s[48:51], 0  ; 4-byte Folded Reload
	buffer_load_dword v1, off, s[48:51], 0 offset:168 ; 4-byte Folded Reload
	s_movk_i32 s12, 0x5fc
	s_waitcnt vmcnt(0)
	v_and_or_b32 v0, v0, s12, v1
	v_lshlrev_b32_e32 v0, 4, v0
	ds_write_b128 v0, v[24:27]
	ds_write_b128 v0, v[116:119] offset:32
.LBB0_33:
	s_or_b64 exec, exec, s[2:3]
	s_waitcnt lgkmcnt(0)
	s_barrier
	ds_read_b128 v[112:115], v255
	ds_read_b128 v[120:123], v255 offset:2816
	ds_read_b128 v[128:131], v255 offset:9856
	;; [unrolled: 1-line block ×5, first 2 shown]
	s_and_saveexec_b64 s[2:3], s[0:1]
	s_cbranch_execz .LBB0_35
; %bb.34:
	ds_read_b128 v[24:27], v255 offset:8448
	ds_read_b128 v[116:119], v255 offset:18304
.LBB0_35:
	s_or_b64 exec, exec, s[2:3]
	s_waitcnt lgkmcnt(3)
	v_mul_f64 v[0:1], v[34:35], v[130:131]
	s_waitcnt lgkmcnt(0)
	v_mul_f64 v[12:13], v[34:35], v[118:119]
	v_mul_f64 v[14:15], v[34:35], v[116:117]
	s_barrier
	v_mul_f64 v[2:3], v[34:35], v[128:129]
	v_mul_f64 v[4:5], v[34:35], v[138:139]
	v_fma_f64 v[0:1], v[32:33], v[128:129], v[0:1]
	v_fma_f64 v[12:13], v[32:33], v[116:117], v[12:13]
	v_fma_f64 v[14:15], v[32:33], v[118:119], -v[14:15]
	v_mul_f64 v[6:7], v[34:35], v[136:137]
	v_mul_f64 v[8:9], v[34:35], v[134:135]
	;; [unrolled: 1-line block ×3, first 2 shown]
	v_fma_f64 v[2:3], v[32:33], v[130:131], -v[2:3]
	v_fma_f64 v[4:5], v[32:33], v[136:137], v[4:5]
	v_add_f64 v[116:117], v[112:113], -v[0:1]
	buffer_load_dword v0, off, s[48:51], 0 offset:144 ; 4-byte Folded Reload
	v_add_f64 v[34:35], v[26:27], -v[14:15]
	v_fma_f64 v[6:7], v[32:33], v[138:139], -v[6:7]
	v_fma_f64 v[8:9], v[32:33], v[132:133], v[8:9]
	v_fma_f64 v[10:11], v[32:33], v[134:135], -v[10:11]
	v_add_f64 v[118:119], v[114:115], -v[2:3]
	v_add_f64 v[132:133], v[120:121], -v[4:5]
	v_fma_f64 v[112:113], v[112:113], 2.0, -v[116:117]
	v_add_f64 v[32:33], v[24:25], -v[12:13]
	v_fma_f64 v[130:131], v[26:27], 2.0, -v[34:35]
	v_add_f64 v[134:135], v[122:123], -v[6:7]
	v_add_f64 v[136:137], v[124:125], -v[8:9]
	;; [unrolled: 1-line block ×3, first 2 shown]
	v_fma_f64 v[114:115], v[114:115], 2.0, -v[118:119]
	v_fma_f64 v[120:121], v[120:121], 2.0, -v[132:133]
	s_waitcnt vmcnt(0)
	ds_write_b128 v0, v[112:115]
	ds_write_b128 v0, v[116:119] offset:64
	buffer_load_dword v0, off, s[48:51], 0 offset:140 ; 4-byte Folded Reload
	v_fma_f64 v[122:123], v[122:123], 2.0, -v[134:135]
	v_fma_f64 v[124:125], v[124:125], 2.0, -v[136:137]
	;; [unrolled: 1-line block ×4, first 2 shown]
	s_waitcnt vmcnt(0)
	ds_write_b128 v0, v[120:123]
	ds_write_b128 v0, v[132:135] offset:64
	buffer_load_dword v0, off, s[48:51], 0 offset:148 ; 4-byte Folded Reload
	s_waitcnt vmcnt(0)
	ds_write_b128 v0, v[124:127]
	ds_write_b128 v0, v[136:139] offset:64
	s_and_saveexec_b64 s[2:3], s[0:1]
	s_cbranch_execz .LBB0_37
; %bb.36:
	buffer_load_dword v0, off, s[48:51], 0  ; 4-byte Folded Reload
	buffer_load_dword v1, off, s[48:51], 0 offset:176 ; 4-byte Folded Reload
	s_movk_i32 s12, 0x5f8
	s_waitcnt vmcnt(0)
	v_and_or_b32 v0, v0, s12, v1
	v_lshlrev_b32_e32 v0, 4, v0
	ds_write_b128 v0, v[128:131]
	ds_write_b128 v0, v[32:35] offset:64
.LBB0_37:
	s_or_b64 exec, exec, s[2:3]
	s_waitcnt lgkmcnt(0)
	s_barrier
	ds_read_b128 v[24:27], v255
	ds_read_b128 v[120:123], v255 offset:2816
	ds_read_b128 v[112:115], v255 offset:9856
	;; [unrolled: 1-line block ×5, first 2 shown]
	s_and_saveexec_b64 s[2:3], s[0:1]
	s_cbranch_execz .LBB0_39
; %bb.38:
	ds_read_b128 v[128:131], v255 offset:8448
	ds_read_b128 v[32:35], v255 offset:18304
.LBB0_39:
	s_or_b64 exec, exec, s[2:3]
	s_waitcnt lgkmcnt(3)
	v_mul_f64 v[0:1], v[42:43], v[114:115]
	s_waitcnt lgkmcnt(0)
	v_mul_f64 v[12:13], v[42:43], v[34:35]
	v_mul_f64 v[14:15], v[42:43], v[32:33]
	s_barrier
	v_mul_f64 v[2:3], v[42:43], v[112:113]
	v_mul_f64 v[4:5], v[42:43], v[126:127]
	v_fma_f64 v[0:1], v[40:41], v[112:113], v[0:1]
	v_fma_f64 v[12:13], v[40:41], v[32:33], v[12:13]
	v_fma_f64 v[14:15], v[40:41], v[34:35], -v[14:15]
	v_mul_f64 v[6:7], v[42:43], v[124:125]
	v_mul_f64 v[8:9], v[42:43], v[118:119]
	;; [unrolled: 1-line block ×3, first 2 shown]
	v_fma_f64 v[2:3], v[40:41], v[114:115], -v[2:3]
	v_fma_f64 v[4:5], v[40:41], v[124:125], v[4:5]
	v_add_f64 v[32:33], v[24:25], -v[0:1]
	buffer_load_dword v0, off, s[48:51], 0 offset:156 ; 4-byte Folded Reload
	v_add_f64 v[124:125], v[128:129], -v[12:13]
	v_fma_f64 v[6:7], v[40:41], v[126:127], -v[6:7]
	v_fma_f64 v[8:9], v[40:41], v[116:117], v[8:9]
	v_fma_f64 v[10:11], v[40:41], v[118:119], -v[10:11]
	v_add_f64 v[34:35], v[26:27], -v[2:3]
	v_add_f64 v[112:113], v[120:121], -v[4:5]
	v_fma_f64 v[24:25], v[24:25], 2.0, -v[32:33]
	v_add_f64 v[126:127], v[130:131], -v[14:15]
	v_fma_f64 v[128:129], v[128:129], 2.0, -v[124:125]
	v_add_f64 v[114:115], v[122:123], -v[6:7]
	v_add_f64 v[116:117], v[132:133], -v[8:9]
	v_add_f64 v[118:119], v[134:135], -v[10:11]
	v_fma_f64 v[26:27], v[26:27], 2.0, -v[34:35]
	v_fma_f64 v[40:41], v[120:121], 2.0, -v[112:113]
	s_waitcnt vmcnt(0)
	ds_write_b128 v0, v[24:27]
	ds_write_b128 v0, v[32:35] offset:128
	buffer_load_dword v0, off, s[48:51], 0 offset:152 ; 4-byte Folded Reload
	v_fma_f64 v[42:43], v[122:123], 2.0, -v[114:115]
	v_fma_f64 v[120:121], v[132:133], 2.0, -v[116:117]
	;; [unrolled: 1-line block ×4, first 2 shown]
	s_waitcnt vmcnt(0)
	ds_write_b128 v0, v[40:43]
	ds_write_b128 v0, v[112:115] offset:128
	buffer_load_dword v0, off, s[48:51], 0 offset:160 ; 4-byte Folded Reload
	s_waitcnt vmcnt(0)
	ds_write_b128 v0, v[120:123]
	ds_write_b128 v0, v[116:119] offset:128
	s_and_saveexec_b64 s[2:3], s[0:1]
	s_cbranch_execz .LBB0_41
; %bb.40:
	buffer_load_dword v0, off, s[48:51], 0  ; 4-byte Folded Reload
	buffer_load_dword v1, off, s[48:51], 0 offset:180 ; 4-byte Folded Reload
	s_movk_i32 s12, 0x5f0
	s_waitcnt vmcnt(0)
	v_and_or_b32 v0, v0, s12, v1
	v_lshlrev_b32_e32 v0, 4, v0
	ds_write_b128 v0, v[128:131]
	ds_write_b128 v0, v[124:127] offset:128
.LBB0_41:
	s_or_b64 exec, exec, s[2:3]
	s_waitcnt lgkmcnt(0)
	s_barrier
	s_and_saveexec_b64 s[2:3], s[4:5]
	s_cbranch_execz .LBB0_43
; %bb.42:
	ds_read_b128 v[24:27], v255
	ds_read_b128 v[32:35], v255 offset:1792
	ds_read_b128 v[40:43], v255 offset:3584
	ds_read_b128 v[112:115], v255 offset:5376
	ds_read_b128 v[120:123], v255 offset:7168
	ds_read_b128 v[116:119], v255 offset:8960
	ds_read_b128 v[128:131], v255 offset:10752
	ds_read_b128 v[124:127], v255 offset:12544
	ds_read_b128 v[108:111], v255 offset:14336
	ds_read_b128 v[104:107], v255 offset:16128
	ds_read_b128 v[76:79], v255 offset:17920
.LBB0_43:
	s_or_b64 exec, exec, s[2:3]
	s_waitcnt lgkmcnt(0)
	s_barrier
	s_and_saveexec_b64 s[2:3], s[4:5]
	s_cbranch_execz .LBB0_45
; %bb.44:
	v_mul_f64 v[2:3], v[70:71], v[130:131]
	v_mul_f64 v[4:5], v[74:75], v[116:117]
	;; [unrolled: 1-line block ×8, first 2 shown]
	v_fma_f64 v[54:55], v[68:69], v[128:129], v[2:3]
	v_mul_f64 v[2:3], v[50:51], v[114:115]
	v_fma_f64 v[74:75], v[72:73], v[118:119], -v[4:5]
	v_fma_f64 v[118:119], v[52:53], v[122:123], -v[12:13]
	v_mul_f64 v[4:5], v[62:63], v[108:109]
	v_fma_f64 v[70:71], v[72:73], v[116:117], v[0:1]
	v_mul_f64 v[0:1], v[66:67], v[124:125]
	v_fma_f64 v[66:67], v[64:65], v[124:125], v[10:11]
	v_fma_f64 v[72:73], v[68:69], v[130:131], -v[6:7]
	v_fma_f64 v[122:123], v[48:49], v[112:113], v[2:3]
	v_mul_f64 v[2:3], v[50:51], v[112:113]
	v_mul_f64 v[10:11], v[38:39], v[34:35]
	;; [unrolled: 1-line block ×3, first 2 shown]
	s_mov_b32 s22, 0xfd768dbf
	v_fma_f64 v[68:69], v[64:65], v[126:127], -v[0:1]
	v_fma_f64 v[64:65], v[60:61], v[108:109], v[14:15]
	v_mul_f64 v[14:15], v[30:31], v[40:41]
	s_mov_b32 s23, 0xbfd207e7
	v_fma_f64 v[62:63], v[48:49], v[114:115], -v[2:3]
	v_fma_f64 v[48:49], v[60:61], v[110:111], -v[4:5]
	v_mul_f64 v[2:3], v[30:31], v[42:43]
	v_mul_f64 v[4:5], v[46:47], v[106:107]
	v_fma_f64 v[30:31], v[56:57], v[76:77], v[12:13]
	s_mov_b32 s28, 0xf8bb580b
	v_fma_f64 v[14:15], v[28:29], v[42:43], -v[14:15]
	s_mov_b32 s20, 0x9bcd5057
	s_mov_b32 s29, 0x3fe14ced
	;; [unrolled: 1-line block ×3, first 2 shown]
	v_fma_f64 v[112:113], v[28:29], v[40:41], v[2:3]
	v_fma_f64 v[60:61], v[44:45], v[104:105], v[4:5]
	v_mul_f64 v[2:3], v[38:39], v[32:33]
	v_mul_f64 v[4:5], v[58:59], v[76:77]
	v_fma_f64 v[38:39], v[36:37], v[32:33], v[10:11]
	v_mul_f64 v[10:11], v[46:47], v[104:105]
	v_add_f64 v[134:135], v[62:63], -v[48:49]
	s_mov_b32 s16, 0xbb3a28a1
	s_mov_b32 s24, 0x8764f0ba
	v_add_f64 v[12:13], v[112:113], -v[60:61]
	v_fma_f64 v[2:3], v[36:37], v[34:35], -v[2:3]
	v_fma_f64 v[32:33], v[56:57], v[78:79], -v[4:5]
	v_add_f64 v[16:17], v[38:39], -v[30:31]
	v_fma_f64 v[28:29], v[44:45], v[106:107], -v[10:11]
	v_add_f64 v[132:133], v[38:39], v[30:31]
	v_add_f64 v[136:137], v[112:113], v[60:61]
	s_mov_b32 s17, 0xbfe82f19
	v_mul_f64 v[22:23], v[12:13], s[28:29]
	s_mov_b32 s25, 0x3feaeb8c
	v_add_f64 v[10:11], v[2:3], -v[32:33]
	v_mul_f64 v[18:19], v[16:17], s[22:23]
	v_add_f64 v[20:21], v[2:3], v[32:33]
	v_add_f64 v[130:131], v[14:15], -v[28:29]
	v_add_f64 v[114:115], v[14:15], v[28:29]
	v_fma_f64 v[116:117], v[52:53], v[120:121], v[8:9]
	v_add_f64 v[108:109], v[122:123], -v[64:65]
	v_add_f64 v[138:139], v[118:119], -v[68:69]
	v_mul_f64 v[34:35], v[10:11], s[22:23]
	v_add_f64 v[140:141], v[122:123], v[64:65]
	v_fma_f64 v[36:37], v[20:21], s[20:21], v[18:19]
	v_mul_f64 v[40:41], v[130:131], s[28:29]
	v_fma_f64 v[44:45], v[114:115], s[24:25], v[22:23]
	v_fma_f64 v[18:19], v[20:21], s[20:21], -v[18:19]
	v_mul_f64 v[46:47], v[134:135], s[16:17]
	s_mov_b32 s18, 0x7f775887
	v_fma_f64 v[42:43], v[132:133], s[20:21], -v[34:35]
	s_mov_b32 s13, 0x3fed1bb4
	v_add_f64 v[36:37], v[26:27], v[36:37]
	v_fma_f64 v[56:57], v[136:137], s[24:25], -v[40:41]
	s_mov_b32 s12, 0x8eee2c13
	s_mov_b32 s19, 0xbfe4f49e
	v_add_f64 v[124:125], v[116:117], -v[66:67]
	v_mul_f64 v[8:9], v[108:109], s[16:17]
	v_add_f64 v[42:43], v[24:25], v[42:43]
	v_add_f64 v[110:111], v[62:63], v[48:49]
	v_fma_f64 v[22:23], v[114:115], s[24:25], -v[22:23]
	v_add_f64 v[18:19], v[26:27], v[18:19]
	v_add_f64 v[36:37], v[44:45], v[36:37]
	;; [unrolled: 1-line block ×3, first 2 shown]
	v_mul_f64 v[44:45], v[138:139], s[12:13]
	v_fma_f64 v[58:59], v[140:141], s[18:19], -v[46:47]
	v_add_f64 v[42:43], v[56:57], v[42:43]
	s_mov_b32 s14, 0xd9c712b6
	s_mov_b32 s15, 0x3fda9628
	v_mul_f64 v[6:7], v[124:125], s[12:13]
	v_add_f64 v[50:51], v[118:119], v[68:69]
	v_fma_f64 v[4:5], v[110:111], s[18:19], v[8:9]
	v_fma_f64 v[8:9], v[110:111], s[18:19], -v[8:9]
	v_add_f64 v[18:19], v[22:23], v[18:19]
	v_fma_f64 v[56:57], v[145:146], s[14:15], -v[44:45]
	v_add_f64 v[42:43], v[58:59], v[42:43]
	v_fma_f64 v[34:35], v[132:133], s[20:21], v[34:35]
	s_mov_b32 s4, 0x43842ef
	v_fma_f64 v[22:23], v[50:51], s[14:15], v[6:7]
	v_fma_f64 v[6:7], v[50:51], s[14:15], -v[6:7]
	s_mov_b32 s5, 0xbfefac9e
	v_add_f64 v[8:9], v[8:9], v[18:19]
	s_mov_b32 s35, 0x3fefac9e
	v_add_f64 v[42:43], v[56:57], v[42:43]
	v_mul_f64 v[56:57], v[10:11], s[16:17]
	s_mov_b32 s34, s4
	v_add_f64 v[120:121], v[70:71], -v[54:55]
	v_add_f64 v[142:143], v[74:75], -v[72:73]
	v_fma_f64 v[40:41], v[136:137], s[24:25], v[40:41]
	v_add_f64 v[6:7], v[6:7], v[8:9]
	v_mul_f64 v[8:9], v[16:17], s[16:17]
	v_add_f64 v[34:35], v[24:25], v[34:35]
	v_mul_f64 v[78:79], v[130:131], s[34:35]
	v_fma_f64 v[104:105], v[132:133], s[18:19], -v[56:57]
	s_mov_b32 s26, 0x640f44db
	s_mov_b32 s27, 0xbfc2375f
	;; [unrolled: 1-line block ×4, first 2 shown]
	v_mul_f64 v[0:1], v[120:121], s[4:5]
	v_add_f64 v[52:53], v[74:75], v[72:73]
	v_add_f64 v[4:5], v[4:5], v[36:37]
	;; [unrolled: 1-line block ×3, first 2 shown]
	v_mul_f64 v[36:37], v[142:143], s[4:5]
	v_fma_f64 v[46:47], v[140:141], s[18:19], v[46:47]
	v_mul_f64 v[58:59], v[12:13], s[34:35]
	v_fma_f64 v[76:77], v[20:21], s[18:19], v[8:9]
	v_mul_f64 v[128:129], v[134:135], s[30:31]
	v_fma_f64 v[149:150], v[136:137], s[26:27], -v[78:79]
	v_add_f64 v[104:105], v[24:25], v[104:105]
	v_add_f64 v[34:35], v[40:41], v[34:35]
	v_fma_f64 v[8:9], v[20:21], s[18:19], -v[8:9]
	v_fma_f64 v[18:19], v[52:53], s[26:27], v[0:1]
	v_add_f64 v[4:5], v[22:23], v[4:5]
	v_fma_f64 v[22:23], v[147:148], s[26:27], -v[36:37]
	v_fma_f64 v[0:1], v[52:53], s[26:27], -v[0:1]
	v_mul_f64 v[106:107], v[108:109], s[30:31]
	v_fma_f64 v[126:127], v[114:115], s[26:27], v[58:59]
	v_add_f64 v[76:77], v[26:27], v[76:77]
	v_fma_f64 v[40:41], v[145:146], s[14:15], v[44:45]
	v_fma_f64 v[153:154], v[140:141], s[24:25], -v[128:129]
	v_add_f64 v[104:105], v[149:150], v[104:105]
	v_add_f64 v[34:35], v[46:47], v[34:35]
	v_fma_f64 v[58:59], v[114:115], s[26:27], -v[58:59]
	v_add_f64 v[8:9], v[26:27], v[8:9]
	v_mul_f64 v[151:152], v[124:125], s[22:23]
	v_fma_f64 v[44:45], v[110:111], s[24:25], v[106:107]
	v_add_f64 v[76:77], v[126:127], v[76:77]
	v_mul_f64 v[126:127], v[138:139], s[22:23]
	v_add_f64 v[104:105], v[153:154], v[104:105]
	v_fma_f64 v[153:154], v[147:148], s[26:27], v[36:37]
	v_add_f64 v[40:41], v[40:41], v[34:35]
	v_add_f64 v[36:37], v[18:19], v[4:5]
	;; [unrolled: 1-line block ×3, first 2 shown]
	v_fma_f64 v[4:5], v[110:111], s[24:25], -v[106:107]
	v_add_f64 v[8:9], v[58:59], v[8:9]
	v_add_f64 v[42:43], v[0:1], v[6:7]
	v_mul_f64 v[0:1], v[16:17], s[4:5]
	v_fma_f64 v[6:7], v[132:133], s[18:19], v[56:57]
	s_mov_b32 s37, 0x3fd207e7
	s_mov_b32 s36, s22
	v_mul_f64 v[149:150], v[120:121], s[12:13]
	v_fma_f64 v[46:47], v[50:51], s[20:21], v[151:152]
	v_add_f64 v[44:45], v[44:45], v[76:77]
	v_mul_f64 v[76:77], v[142:143], s[12:13]
	v_fma_f64 v[155:156], v[145:146], s[20:21], -v[126:127]
	v_fma_f64 v[18:19], v[50:51], s[20:21], -v[151:152]
	v_add_f64 v[4:5], v[4:5], v[8:9]
	v_fma_f64 v[8:9], v[136:137], s[26:27], v[78:79]
	v_mul_f64 v[22:23], v[12:13], s[36:37]
	v_fma_f64 v[56:57], v[20:21], s[26:27], v[0:1]
	v_add_f64 v[6:7], v[24:25], v[6:7]
	v_fma_f64 v[157:158], v[52:53], s[14:15], v[149:150]
	v_add_f64 v[44:45], v[46:47], v[44:45]
	v_fma_f64 v[159:160], v[147:148], s[14:15], -v[76:77]
	v_add_f64 v[104:105], v[155:156], v[104:105]
	v_add_f64 v[4:5], v[18:19], v[4:5]
	v_fma_f64 v[18:19], v[140:141], s[24:25], v[128:129]
	v_mul_f64 v[78:79], v[108:109], s[12:13]
	v_fma_f64 v[106:107], v[114:115], s[20:21], v[22:23]
	v_add_f64 v[56:57], v[26:27], v[56:57]
	v_add_f64 v[6:7], v[8:9], v[6:7]
	v_fma_f64 v[0:1], v[20:21], s[26:27], -v[0:1]
	v_add_f64 v[46:47], v[157:158], v[44:45]
	v_add_f64 v[44:45], v[159:160], v[104:105]
	v_mul_f64 v[104:105], v[10:11], s[4:5]
	v_fma_f64 v[8:9], v[147:148], s[14:15], v[76:77]
	v_fma_f64 v[76:77], v[145:146], s[20:21], v[126:127]
	v_mul_f64 v[126:127], v[124:125], s[30:31]
	v_fma_f64 v[151:152], v[110:111], s[14:15], v[78:79]
	v_add_f64 v[56:57], v[106:107], v[56:57]
	v_add_f64 v[6:7], v[18:19], v[6:7]
	v_fma_f64 v[22:23], v[114:115], s[20:21], -v[22:23]
	v_add_f64 v[0:1], v[26:27], v[0:1]
	v_fma_f64 v[58:59], v[52:53], s[14:15], -v[149:150]
	v_mul_f64 v[128:129], v[130:131], s[36:37]
	v_fma_f64 v[149:150], v[132:133], s[26:27], -v[104:105]
	v_fma_f64 v[155:156], v[50:51], s[24:25], v[126:127]
	v_add_f64 v[56:57], v[151:152], v[56:57]
	v_add_f64 v[6:7], v[76:77], v[6:7]
	v_fma_f64 v[157:158], v[110:111], s[14:15], -v[78:79]
	v_add_f64 v[0:1], v[22:23], v[0:1]
	v_add_f64 v[40:41], v[153:154], v[40:41]
	v_mul_f64 v[106:107], v[134:135], s[12:13]
	v_fma_f64 v[153:154], v[136:137], s[20:21], -v[128:129]
	v_add_f64 v[149:150], v[24:25], v[149:150]
	v_add_f64 v[155:156], v[155:156], v[56:57]
	;; [unrolled: 1-line block ×3, first 2 shown]
	v_fma_f64 v[6:7], v[50:51], s[24:25], -v[126:127]
	v_add_f64 v[0:1], v[157:158], v[0:1]
	v_fma_f64 v[104:105], v[132:133], s[26:27], v[104:105]
	v_mul_f64 v[18:19], v[120:121], s[16:17]
	v_mul_f64 v[76:77], v[138:139], s[30:31]
	v_fma_f64 v[151:152], v[140:141], s[14:15], -v[106:107]
	v_add_f64 v[149:150], v[153:154], v[149:150]
	s_mov_b32 s13, 0xbfed1bb4
	v_add_f64 v[58:59], v[58:59], v[4:5]
	v_add_f64 v[0:1], v[6:7], v[0:1]
	v_fma_f64 v[6:7], v[136:137], s[20:21], v[128:129]
	v_add_f64 v[104:105], v[24:25], v[104:105]
	v_fma_f64 v[153:154], v[52:53], s[18:19], v[18:19]
	v_mul_f64 v[4:5], v[142:143], s[16:17]
	v_fma_f64 v[22:23], v[145:146], s[24:25], -v[76:77]
	v_add_f64 v[149:150], v[151:152], v[149:150]
	v_mul_f64 v[8:9], v[16:17], s[12:13]
	v_fma_f64 v[106:107], v[140:141], s[14:15], v[106:107]
	v_mul_f64 v[151:152], v[12:13], s[16:17]
	v_add_f64 v[6:7], v[6:7], v[104:105]
	v_add_f64 v[78:79], v[153:154], v[155:156]
	v_fma_f64 v[126:127], v[147:148], s[18:19], -v[4:5]
	v_fma_f64 v[76:77], v[145:146], s[24:25], v[76:77]
	v_add_f64 v[22:23], v[22:23], v[149:150]
	v_fma_f64 v[153:154], v[20:21], s[14:15], v[8:9]
	v_mul_f64 v[157:158], v[108:109], s[36:37]
	v_fma_f64 v[159:160], v[114:115], s[18:19], v[151:152]
	v_add_f64 v[6:7], v[106:107], v[6:7]
	v_add_f64 v[2:3], v[26:27], v[2:3]
	v_mul_f64 v[165:166], v[124:125], s[34:35]
	v_mul_f64 v[149:150], v[10:11], s[12:13]
	v_fma_f64 v[8:9], v[20:21], s[14:15], -v[8:9]
	v_add_f64 v[153:154], v[26:27], v[153:154]
	v_fma_f64 v[104:105], v[110:111], s[20:21], v[157:158]
	v_fma_f64 v[4:5], v[147:148], s[18:19], v[4:5]
	v_add_f64 v[6:7], v[76:77], v[6:7]
	v_add_f64 v[76:77], v[126:127], v[22:23]
	;; [unrolled: 1-line block ×4, first 2 shown]
	v_fma_f64 v[106:107], v[50:51], s[26:27], v[165:166]
	v_add_f64 v[153:154], v[159:160], v[153:154]
	v_fma_f64 v[18:19], v[52:53], s[18:19], -v[18:19]
	v_mul_f64 v[155:156], v[130:131], s[16:17]
	v_fma_f64 v[128:129], v[132:133], s[14:15], -v[149:150]
	v_fma_f64 v[151:152], v[114:115], s[18:19], -v[151:152]
	v_add_f64 v[14:15], v[22:23], v[112:113]
	v_add_f64 v[8:9], v[26:27], v[8:9]
	;; [unrolled: 1-line block ×4, first 2 shown]
	v_mul_f64 v[10:11], v[10:11], s[30:31]
	v_fma_f64 v[163:164], v[136:137], s[18:19], -v[155:156]
	v_add_f64 v[128:129], v[24:25], v[128:129]
	v_mul_f64 v[12:13], v[12:13], s[12:13]
	v_add_f64 v[14:15], v[14:15], v[122:123]
	v_add_f64 v[8:9], v[151:152], v[8:9]
	;; [unrolled: 1-line block ×5, first 2 shown]
	v_mul_f64 v[6:7], v[16:17], s[30:31]
	v_add_f64 v[106:107], v[18:19], v[0:1]
	v_fma_f64 v[0:1], v[110:111], s[20:21], -v[157:158]
	v_add_f64 v[14:15], v[14:15], v[116:117]
	v_add_f64 v[128:129], v[163:164], v[128:129]
	v_mul_f64 v[163:164], v[120:121], s[28:29]
	v_fma_f64 v[18:19], v[132:133], s[14:15], v[149:150]
	v_fma_f64 v[4:5], v[50:51], s[26:27], -v[165:166]
	v_fma_f64 v[38:39], v[20:21], s[24:25], v[6:7]
	v_fma_f64 v[6:7], v[20:21], s[24:25], -v[6:7]
	v_mul_f64 v[20:21], v[130:131], s[12:13]
	v_add_f64 v[14:15], v[14:15], v[70:71]
	v_fma_f64 v[70:71], v[132:133], s[24:25], v[10:11]
	v_fma_f64 v[10:11], v[132:133], s[24:25], -v[10:11]
	v_add_f64 v[0:1], v[0:1], v[8:9]
	v_add_f64 v[2:3], v[2:3], v[74:75]
	;; [unrolled: 1-line block ×3, first 2 shown]
	v_mul_f64 v[74:75], v[134:135], s[4:5]
	v_add_f64 v[6:7], v[26:27], v[6:7]
	v_fma_f64 v[26:27], v[136:137], s[14:15], v[20:21]
	v_add_f64 v[14:15], v[14:15], v[54:55]
	v_add_f64 v[54:55], v[24:25], v[70:71]
	v_fma_f64 v[20:21], v[136:137], s[14:15], -v[20:21]
	v_add_f64 v[10:11], v[24:25], v[10:11]
	v_add_f64 v[18:19], v[24:25], v[18:19]
	v_fma_f64 v[8:9], v[52:53], s[24:25], -v[163:164]
	v_add_f64 v[0:1], v[4:5], v[0:1]
	v_fma_f64 v[16:17], v[136:137], s[18:19], v[155:156]
	v_add_f64 v[2:3], v[2:3], v[72:73]
	v_add_f64 v[24:25], v[26:27], v[54:55]
	v_fma_f64 v[26:27], v[140:141], s[26:27], -v[74:75]
	v_add_f64 v[10:11], v[20:21], v[10:11]
	v_mul_f64 v[4:5], v[108:109], s[4:5]
	v_mul_f64 v[161:162], v[134:135], s[36:37]
	v_add_f64 v[14:15], v[14:15], v[66:67]
	v_add_f64 v[16:17], v[16:17], v[18:19]
	v_fma_f64 v[18:19], v[114:115], s[14:15], v[12:13]
	v_fma_f64 v[12:13], v[114:115], s[14:15], -v[12:13]
	v_add_f64 v[2:3], v[2:3], v[68:69]
	v_add_f64 v[10:11], v[26:27], v[10:11]
	v_add_f64 v[26:27], v[8:9], v[0:1]
	buffer_load_dword v0, off, s[48:51], 0 offset:164 ; 4-byte Folded Reload
	buffer_load_dword v1, off, s[48:51], 0 offset:112 ; 4-byte Folded Reload
	v_mul_f64 v[112:113], v[124:125], s[16:17]
	v_fma_f64 v[62:63], v[110:111], s[26:27], v[4:5]
	v_add_f64 v[18:19], v[18:19], v[22:23]
	v_mul_f64 v[116:117], v[138:139], s[16:17]
	v_fma_f64 v[4:5], v[110:111], s[26:27], -v[4:5]
	v_add_f64 v[6:7], v[12:13], v[6:7]
	v_fma_f64 v[12:13], v[140:141], s[26:27], v[74:75]
	v_mul_f64 v[159:160], v[138:139], s[34:35]
	v_fma_f64 v[149:150], v[140:141], s[20:21], v[161:162]
	v_fma_f64 v[167:168], v[140:141], s[20:21], -v[161:162]
	v_add_f64 v[2:3], v[2:3], v[48:49]
	v_add_f64 v[14:15], v[14:15], v[64:65]
	v_mul_f64 v[108:109], v[120:121], s[22:23]
	v_add_f64 v[18:19], v[62:63], v[18:19]
	v_mul_f64 v[62:63], v[142:143], s[22:23]
	v_fma_f64 v[20:21], v[50:51], s[18:19], -v[112:113]
	v_add_f64 v[4:5], v[4:5], v[6:7]
	v_fma_f64 v[6:7], v[145:146], s[18:19], v[116:117]
	v_add_f64 v[12:13], v[12:13], v[24:25]
	v_mul_f64 v[153:154], v[142:143], s[28:29]
	v_fma_f64 v[38:39], v[145:146], s[26:27], v[159:160]
	v_add_f64 v[16:17], v[149:150], v[16:17]
	v_fma_f64 v[169:170], v[145:146], s[26:27], -v[159:160]
	v_add_f64 v[128:129], v[167:168], v[128:129]
	v_fma_f64 v[120:121], v[50:51], s[18:19], v[112:113]
	v_fma_f64 v[24:25], v[145:146], s[18:19], -v[116:117]
	v_add_f64 v[2:3], v[2:3], v[28:29]
	v_add_f64 v[14:15], v[14:15], v[60:61]
	v_fma_f64 v[48:49], v[52:53], s[20:21], -v[108:109]
	v_add_f64 v[4:5], v[20:21], v[4:5]
	v_fma_f64 v[20:21], v[147:148], s[20:21], v[62:63]
	v_add_f64 v[6:7], v[6:7], v[12:13]
	v_fma_f64 v[22:23], v[147:148], s[24:25], v[153:154]
	;; [unrolled: 2-line block ×3, first 2 shown]
	v_fma_f64 v[173:174], v[147:148], s[24:25], -v[153:154]
	v_add_f64 v[169:170], v[169:170], v[128:129]
	v_fma_f64 v[38:39], v[52:53], s[20:21], v[108:109]
	v_add_f64 v[12:13], v[120:121], v[18:19]
	v_fma_f64 v[18:19], v[147:148], s[20:21], -v[62:63]
	v_add_f64 v[10:11], v[24:25], v[10:11]
	v_add_f64 v[32:33], v[2:3], v[32:33]
	;; [unrolled: 1-line block ×10, first 2 shown]
	s_waitcnt vmcnt(1)
	v_mul_u32_u24_e32 v0, 0xb0, v0
	s_waitcnt vmcnt(0)
	v_or_b32_e32 v0, v0, v1
	v_lshlrev_b32_e32 v0, 4, v0
	ds_write_b128 v0, v[30:33]
	ds_write_b128 v0, v[48:51] offset:256
	ds_write_b128 v0, v[24:27] offset:512
	;; [unrolled: 1-line block ×10, first 2 shown]
.LBB0_45:
	s_or_b64 exec, exec, s[2:3]
	s_waitcnt lgkmcnt(0)
	s_barrier
	ds_read_b128 v[24:27], v255 offset:2816
	ds_read_b128 v[28:31], v255 offset:5632
	;; [unrolled: 1-line block ×3, first 2 shown]
	ds_read_b128 v[36:39], v255
	ds_read_b128 v[40:43], v255 offset:11264
	ds_read_b128 v[44:47], v255 offset:14080
	;; [unrolled: 1-line block ×3, first 2 shown]
	s_mov_b32 s2, 0x37e14327
	s_waitcnt lgkmcnt(6)
	v_mul_f64 v[0:1], v[94:95], v[26:27]
	v_mul_f64 v[2:3], v[94:95], v[24:25]
	s_waitcnt lgkmcnt(5)
	v_mul_f64 v[4:5], v[90:91], v[30:31]
	v_mul_f64 v[6:7], v[90:91], v[28:29]
	;; [unrolled: 3-line block ×3, first 2 shown]
	v_mul_f64 v[16:17], v[102:103], v[46:47]
	v_mul_f64 v[18:19], v[102:103], v[44:45]
	;; [unrolled: 1-line block ×6, first 2 shown]
	v_fma_f64 v[0:1], v[92:93], v[24:25], v[0:1]
	v_fma_f64 v[2:3], v[92:93], v[26:27], -v[2:3]
	v_fma_f64 v[4:5], v[88:89], v[28:29], v[4:5]
	v_fma_f64 v[6:7], v[88:89], v[30:31], -v[6:7]
	;; [unrolled: 2-line block ×6, first 2 shown]
	v_add_f64 v[24:25], v[0:1], v[8:9]
	v_add_f64 v[26:27], v[2:3], v[10:11]
	v_add_f64 v[0:1], v[0:1], -v[8:9]
	v_add_f64 v[2:3], v[2:3], -v[10:11]
	v_add_f64 v[8:9], v[4:5], v[16:17]
	v_add_f64 v[10:11], v[6:7], v[18:19]
	v_add_f64 v[4:5], v[4:5], -v[16:17]
	v_add_f64 v[6:7], v[6:7], -v[18:19]
	;; [unrolled: 4-line block ×4, first 2 shown]
	v_add_f64 v[32:33], v[24:25], -v[16:17]
	v_add_f64 v[34:35], v[26:27], -v[18:19]
	v_add_f64 v[8:9], v[16:17], -v[8:9]
	v_add_f64 v[10:11], v[18:19], -v[10:11]
	v_add_f64 v[24:25], v[12:13], v[4:5]
	v_add_f64 v[26:27], v[14:15], v[6:7]
	v_add_f64 v[40:41], v[12:13], -v[4:5]
	v_add_f64 v[42:43], v[14:15], -v[6:7]
	v_add_f64 v[16:17], v[16:17], v[20:21]
	v_add_f64 v[18:19], v[18:19], v[22:23]
	v_add_f64 v[4:5], v[4:5], -v[0:1]
	v_add_f64 v[6:7], v[6:7], -v[2:3]
	s_mov_b32 s3, 0x3fe948f6
	v_mul_f64 v[20:21], v[32:33], s[2:3]
	v_mul_f64 v[22:23], v[34:35], s[2:3]
	s_mov_b32 s2, 0x36b3c0b5
	s_mov_b32 s3, 0x3fac98ee
	;; [unrolled: 1-line block ×3, first 2 shown]
	v_mul_f64 v[32:33], v[8:9], s[2:3]
	v_mul_f64 v[34:35], v[10:11], s[2:3]
	s_mov_b32 s5, 0x3fe11646
	v_add_f64 v[12:13], v[0:1], -v[12:13]
	v_add_f64 v[14:15], v[2:3], -v[14:15]
	v_add_f64 v[0:1], v[24:25], v[0:1]
	v_add_f64 v[2:3], v[26:27], v[2:3]
	v_add_f64 v[24:25], v[36:37], v[16:17]
	v_add_f64 v[26:27], v[38:39], v[18:19]
	v_mul_f64 v[36:37], v[40:41], s[4:5]
	v_mul_f64 v[38:39], v[42:43], s[4:5]
	s_mov_b32 s4, 0x429ad128
	s_mov_b32 s5, 0xbfebfeb5
	v_mul_f64 v[40:41], v[4:5], s[4:5]
	v_mul_f64 v[42:43], v[6:7], s[4:5]
	v_fma_f64 v[8:9], v[8:9], s[2:3], v[20:21]
	v_fma_f64 v[10:11], v[10:11], s[2:3], v[22:23]
	s_mov_b32 s3, 0x3fe77f67
	s_mov_b32 s2, 0x5476071b
	s_mov_b32 s12, 0xaaaaaaaa
	v_fma_f64 v[32:33], v[28:29], s[2:3], -v[32:33]
	v_fma_f64 v[34:35], v[30:31], s[2:3], -v[34:35]
	s_mov_b32 s3, 0xbfe77f67
	s_mov_b32 s13, 0xbff2aaaa
	v_fma_f64 v[20:21], v[28:29], s[2:3], -v[20:21]
	v_fma_f64 v[22:23], v[30:31], s[2:3], -v[22:23]
	s_mov_b32 s3, 0xbfd5d0dc
	s_mov_b32 s2, 0xb247c609
	v_fma_f64 v[16:17], v[16:17], s[12:13], v[24:25]
	v_fma_f64 v[18:19], v[18:19], s[12:13], v[26:27]
	;; [unrolled: 1-line block ×4, first 2 shown]
	s_mov_b32 s3, 0x3fd5d0dc
	v_fma_f64 v[12:13], v[12:13], s[2:3], -v[40:41]
	v_fma_f64 v[14:15], v[14:15], s[2:3], -v[42:43]
	;; [unrolled: 1-line block ×4, first 2 shown]
	s_mov_b32 s2, 0x37c3f68c
	s_mov_b32 s3, 0xbfdc38aa
	v_add_f64 v[8:9], v[8:9], v[16:17]
	v_add_f64 v[10:11], v[10:11], v[18:19]
	;; [unrolled: 1-line block ×6, first 2 shown]
	v_fma_f64 v[20:21], v[2:3], s[2:3], v[30:31]
	v_fma_f64 v[22:23], v[0:1], s[2:3], v[28:29]
	;; [unrolled: 1-line block ×6, first 2 shown]
	v_add_f64 v[28:29], v[20:21], v[8:9]
	v_add_f64 v[30:31], v[10:11], -v[22:23]
	v_add_f64 v[32:33], v[14:15], v[16:17]
	v_add_f64 v[34:35], v[18:19], -v[12:13]
	v_add_f64 v[36:37], v[40:41], -v[2:3]
	v_add_f64 v[38:39], v[0:1], v[42:43]
	v_add_f64 v[40:41], v[2:3], v[40:41]
	v_add_f64 v[42:43], v[42:43], -v[0:1]
	v_add_f64 v[44:45], v[16:17], -v[14:15]
	v_add_f64 v[46:47], v[12:13], v[18:19]
	v_add_f64 v[48:49], v[8:9], -v[20:21]
	v_add_f64 v[50:51], v[22:23], v[10:11]
	buffer_load_dword v0, off, s[48:51], 0 offset:8 ; 4-byte Folded Reload
	buffer_load_dword v1, off, s[48:51], 0 offset:12 ; 4-byte Folded Reload
	ds_write_b128 v255, v[24:27]
	ds_write_b128 v255, v[28:31] offset:2816
	ds_write_b128 v255, v[32:35] offset:5632
	;; [unrolled: 1-line block ×6, first 2 shown]
	s_waitcnt vmcnt(0) lgkmcnt(0)
	s_barrier
	ds_read_b128 v[24:27], v255
	ds_read_b128 v[28:31], v255 offset:2816
	buffer_load_dword v9, off, s[48:51], 0 offset:96 ; 4-byte Folded Reload
	buffer_load_dword v10, off, s[48:51], 0 offset:100 ; 4-byte Folded Reload
	;; [unrolled: 1-line block ×4, first 2 shown]
	ds_read_b128 v[20:23], v255 offset:9856
	ds_read_b128 v[32:35], v255 offset:5632
	v_mad_u64_u32 v[7:8], s[2:3], s8, v175, 0
	v_mov_b32_e32 v4, v0
	v_mad_u64_u32 v[0:1], s[2:3], s10, v4, 0
	s_waitcnt vmcnt(0) lgkmcnt(3)
	v_mul_f64 v[2:3], v[11:12], v[26:27]
	v_mad_u64_u32 v[4:5], s[2:3], s11, v4, v[1:2]
	v_mul_f64 v[5:6], v[11:12], v[24:25]
	v_fma_f64 v[2:3], v[9:10], v[24:25], v[2:3]
	v_mov_b32_e32 v1, v4
	s_mov_b32 s2, 0x606a63be
	s_mov_b32 s3, 0x3f4a98ef
	v_lshlrev_b64 v[0:1], 4, v[0:1]
	v_fma_f64 v[4:5], v[9:10], v[26:27], -v[5:6]
	buffer_load_dword v10, off, s[48:51], 0 offset:16 ; 4-byte Folded Reload
	buffer_load_dword v11, off, s[48:51], 0 offset:20 ; 4-byte Folded Reload
	;; [unrolled: 1-line block ×4, first 2 shown]
	v_mul_f64 v[24:25], v[2:3], s[2:3]
	v_mov_b32_e32 v6, v8
	v_mad_u64_u32 v[8:9], s[4:5], s9, v175, v[6:7]
	v_mov_b32_e32 v6, s7
	v_add_co_u32_e32 v9, vcc, s6, v0
	v_mul_f64 v[26:27], v[4:5], s[2:3]
	v_addc_co_u32_e32 v6, vcc, v6, v1, vcc
	s_mul_i32 s4, s9, 0x268
	s_mul_hi_u32 s5, s8, 0x268
	s_add_i32 s5, s5, s4
	s_mul_i32 s4, s8, 0x268
	s_lshl_b64 s[4:5], s[4:5], 4
	v_mov_b32_e32 v18, s5
	s_mul_hi_u32 s7, s8, 0xfffffe48
	s_mul_i32 s6, s9, 0xfffffe48
	s_sub_i32 s7, s7, s8
	s_add_i32 s7, s7, s6
	s_mul_i32 s6, s8, 0xfffffe48
	s_lshl_b64 s[6:7], s[6:7], 4
	v_mov_b32_e32 v19, s7
	s_waitcnt vmcnt(0) lgkmcnt(1)
	v_mul_f64 v[2:3], v[12:13], v[22:23]
	v_mul_f64 v[4:5], v[12:13], v[20:21]
	v_fma_f64 v[0:1], v[10:11], v[20:21], v[2:3]
	v_fma_f64 v[2:3], v[10:11], v[22:23], -v[4:5]
	v_lshlrev_b64 v[4:5], 4, v[7:8]
	v_add_co_u32_e32 v4, vcc, v9, v4
	v_addc_co_u32_e32 v5, vcc, v6, v5, vcc
	global_store_dwordx4 v[4:5], v[24:27], off
	buffer_load_dword v10, off, s[48:51], 0 offset:32 ; 4-byte Folded Reload
	buffer_load_dword v11, off, s[48:51], 0 offset:36 ; 4-byte Folded Reload
	;; [unrolled: 1-line block ×4, first 2 shown]
	v_mul_f64 v[0:1], v[0:1], s[2:3]
	v_mul_f64 v[2:3], v[2:3], s[2:3]
	ds_read_b128 v[20:23], v255 offset:15488
	s_waitcnt vmcnt(0)
	v_mul_f64 v[6:7], v[12:13], v[30:31]
	v_mul_f64 v[8:9], v[12:13], v[28:29]
	v_fma_f64 v[6:7], v[10:11], v[28:29], v[6:7]
	v_fma_f64 v[8:9], v[10:11], v[30:31], -v[8:9]
	v_add_co_u32_e32 v10, vcc, s4, v4
	v_addc_co_u32_e32 v11, vcc, v5, v18, vcc
	global_store_dwordx4 v[10:11], v[0:3], off
	ds_read_b128 v[0:3], v255 offset:12672
	buffer_load_dword v14, off, s[48:51], 0 offset:48 ; 4-byte Folded Reload
	buffer_load_dword v15, off, s[48:51], 0 offset:52 ; 4-byte Folded Reload
	;; [unrolled: 1-line block ×8, first 2 shown]
	v_mul_f64 v[4:5], v[6:7], s[2:3]
	v_mul_f64 v[6:7], v[8:9], s[2:3]
	v_add_co_u32_e32 v10, vcc, s6, v10
	v_addc_co_u32_e32 v11, vcc, v11, v19, vcc
	s_waitcnt vmcnt(4) lgkmcnt(0)
	v_mul_f64 v[8:9], v[16:17], v[2:3]
	v_mul_f64 v[12:13], v[16:17], v[0:1]
	v_fma_f64 v[0:1], v[14:15], v[0:1], v[8:9]
	v_fma_f64 v[2:3], v[14:15], v[2:3], -v[12:13]
	s_waitcnt vmcnt(0)
	v_mul_f64 v[8:9], v[26:27], v[34:35]
	v_mul_f64 v[12:13], v[26:27], v[32:33]
	buffer_load_dword v26, off, s[48:51], 0 offset:80 ; 4-byte Folded Reload
	buffer_load_dword v27, off, s[48:51], 0 offset:84 ; 4-byte Folded Reload
	;; [unrolled: 1-line block ×4, first 2 shown]
	v_mul_f64 v[0:1], v[0:1], s[2:3]
	global_store_dwordx4 v[10:11], v[4:7], off
	v_mul_f64 v[2:3], v[2:3], s[2:3]
	v_fma_f64 v[4:5], v[24:25], v[32:33], v[8:9]
	v_fma_f64 v[6:7], v[24:25], v[34:35], -v[12:13]
	v_mul_f64 v[4:5], v[4:5], s[2:3]
	v_mul_f64 v[6:7], v[6:7], s[2:3]
	s_waitcnt vmcnt(1)
	v_mul_f64 v[14:15], v[28:29], v[22:23]
	v_mul_f64 v[16:17], v[28:29], v[20:21]
	v_fma_f64 v[8:9], v[26:27], v[20:21], v[14:15]
	v_fma_f64 v[12:13], v[26:27], v[22:23], -v[16:17]
	v_add_co_u32_e32 v14, vcc, s4, v10
	v_addc_co_u32_e32 v15, vcc, v11, v18, vcc
	global_store_dwordx4 v[14:15], v[0:3], off
	v_mul_f64 v[8:9], v[8:9], s[2:3]
	v_mul_f64 v[10:11], v[12:13], s[2:3]
	v_add_co_u32_e32 v0, vcc, s6, v14
	v_addc_co_u32_e32 v1, vcc, v15, v19, vcc
	global_store_dwordx4 v[0:1], v[4:7], off
	v_add_co_u32_e32 v0, vcc, s4, v0
	v_addc_co_u32_e32 v1, vcc, v1, v18, vcc
	global_store_dwordx4 v[0:1], v[8:11], off
	s_and_b64 exec, exec, s[0:1]
	s_cbranch_execz .LBB0_47
; %bb.46:
	buffer_load_dword v7, off, s[48:51], 0 offset:4 ; 4-byte Folded Reload
	v_add_co_u32_e32 v2, vcc, 0x2000, v144
	s_movk_i32 s0, 0x4000
	s_waitcnt vmcnt(0)
	v_addc_co_u32_e32 v3, vcc, 0, v7, vcc
	v_add_co_u32_e32 v6, vcc, s0, v144
	global_load_dwordx4 v[2:5], v[2:3], off offset:256
	v_addc_co_u32_e32 v7, vcc, 0, v7, vcc
	global_load_dwordx4 v[6:9], v[6:7], off offset:1920
	ds_read_b128 v[10:13], v255 offset:8448
	ds_read_b128 v[14:17], v255 offset:18304
	v_add_co_u32_e32 v0, vcc, s6, v0
	s_waitcnt vmcnt(1) lgkmcnt(1)
	v_mul_f64 v[18:19], v[12:13], v[4:5]
	v_mul_f64 v[4:5], v[10:11], v[4:5]
	s_waitcnt vmcnt(0) lgkmcnt(0)
	v_mul_f64 v[20:21], v[16:17], v[8:9]
	v_mul_f64 v[8:9], v[14:15], v[8:9]
	v_fma_f64 v[10:11], v[10:11], v[2:3], v[18:19]
	v_fma_f64 v[4:5], v[2:3], v[12:13], -v[4:5]
	v_fma_f64 v[12:13], v[14:15], v[6:7], v[20:21]
	v_fma_f64 v[8:9], v[6:7], v[16:17], -v[8:9]
	v_mov_b32_e32 v14, s7
	v_addc_co_u32_e32 v1, vcc, v1, v14, vcc
	v_mul_f64 v[2:3], v[10:11], s[2:3]
	v_mul_f64 v[4:5], v[4:5], s[2:3]
	v_mov_b32_e32 v15, s5
	v_mul_f64 v[6:7], v[12:13], s[2:3]
	v_mul_f64 v[8:9], v[8:9], s[2:3]
	v_add_co_u32_e32 v10, vcc, s4, v0
	v_addc_co_u32_e32 v11, vcc, v1, v15, vcc
	global_store_dwordx4 v[0:1], v[2:5], off
	global_store_dwordx4 v[10:11], v[6:9], off
.LBB0_47:
	s_endpgm
	.section	.rodata,"a",@progbits
	.p2align	6, 0x0
	.amdhsa_kernel bluestein_single_back_len1232_dim1_dp_op_CI_CI
		.amdhsa_group_segment_fixed_size 19712
		.amdhsa_private_segment_fixed_size 360
		.amdhsa_kernarg_size 104
		.amdhsa_user_sgpr_count 6
		.amdhsa_user_sgpr_private_segment_buffer 1
		.amdhsa_user_sgpr_dispatch_ptr 0
		.amdhsa_user_sgpr_queue_ptr 0
		.amdhsa_user_sgpr_kernarg_segment_ptr 1
		.amdhsa_user_sgpr_dispatch_id 0
		.amdhsa_user_sgpr_flat_scratch_init 0
		.amdhsa_user_sgpr_private_segment_size 0
		.amdhsa_uses_dynamic_stack 0
		.amdhsa_system_sgpr_private_segment_wavefront_offset 1
		.amdhsa_system_sgpr_workgroup_id_x 1
		.amdhsa_system_sgpr_workgroup_id_y 0
		.amdhsa_system_sgpr_workgroup_id_z 0
		.amdhsa_system_sgpr_workgroup_info 0
		.amdhsa_system_vgpr_workitem_id 0
		.amdhsa_next_free_vgpr 256
		.amdhsa_next_free_sgpr 52
		.amdhsa_reserve_vcc 1
		.amdhsa_reserve_flat_scratch 0
		.amdhsa_float_round_mode_32 0
		.amdhsa_float_round_mode_16_64 0
		.amdhsa_float_denorm_mode_32 3
		.amdhsa_float_denorm_mode_16_64 3
		.amdhsa_dx10_clamp 1
		.amdhsa_ieee_mode 1
		.amdhsa_fp16_overflow 0
		.amdhsa_exception_fp_ieee_invalid_op 0
		.amdhsa_exception_fp_denorm_src 0
		.amdhsa_exception_fp_ieee_div_zero 0
		.amdhsa_exception_fp_ieee_overflow 0
		.amdhsa_exception_fp_ieee_underflow 0
		.amdhsa_exception_fp_ieee_inexact 0
		.amdhsa_exception_int_div_zero 0
	.end_amdhsa_kernel
	.text
.Lfunc_end0:
	.size	bluestein_single_back_len1232_dim1_dp_op_CI_CI, .Lfunc_end0-bluestein_single_back_len1232_dim1_dp_op_CI_CI
                                        ; -- End function
	.section	.AMDGPU.csdata,"",@progbits
; Kernel info:
; codeLenInByte = 16584
; NumSgprs: 56
; NumVgprs: 256
; ScratchSize: 360
; MemoryBound: 0
; FloatMode: 240
; IeeeMode: 1
; LDSByteSize: 19712 bytes/workgroup (compile time only)
; SGPRBlocks: 6
; VGPRBlocks: 63
; NumSGPRsForWavesPerEU: 56
; NumVGPRsForWavesPerEU: 256
; Occupancy: 1
; WaveLimiterHint : 1
; COMPUTE_PGM_RSRC2:SCRATCH_EN: 1
; COMPUTE_PGM_RSRC2:USER_SGPR: 6
; COMPUTE_PGM_RSRC2:TRAP_HANDLER: 0
; COMPUTE_PGM_RSRC2:TGID_X_EN: 1
; COMPUTE_PGM_RSRC2:TGID_Y_EN: 0
; COMPUTE_PGM_RSRC2:TGID_Z_EN: 0
; COMPUTE_PGM_RSRC2:TIDIG_COMP_CNT: 0
	.type	__hip_cuid_2f09430f27d60f7a,@object ; @__hip_cuid_2f09430f27d60f7a
	.section	.bss,"aw",@nobits
	.globl	__hip_cuid_2f09430f27d60f7a
__hip_cuid_2f09430f27d60f7a:
	.byte	0                               ; 0x0
	.size	__hip_cuid_2f09430f27d60f7a, 1

	.ident	"AMD clang version 19.0.0git (https://github.com/RadeonOpenCompute/llvm-project roc-6.4.0 25133 c7fe45cf4b819c5991fe208aaa96edf142730f1d)"
	.section	".note.GNU-stack","",@progbits
	.addrsig
	.addrsig_sym __hip_cuid_2f09430f27d60f7a
	.amdgpu_metadata
---
amdhsa.kernels:
  - .args:
      - .actual_access:  read_only
        .address_space:  global
        .offset:         0
        .size:           8
        .value_kind:     global_buffer
      - .actual_access:  read_only
        .address_space:  global
        .offset:         8
        .size:           8
        .value_kind:     global_buffer
      - .actual_access:  read_only
        .address_space:  global
        .offset:         16
        .size:           8
        .value_kind:     global_buffer
      - .actual_access:  read_only
        .address_space:  global
        .offset:         24
        .size:           8
        .value_kind:     global_buffer
      - .actual_access:  read_only
        .address_space:  global
        .offset:         32
        .size:           8
        .value_kind:     global_buffer
      - .offset:         40
        .size:           8
        .value_kind:     by_value
      - .address_space:  global
        .offset:         48
        .size:           8
        .value_kind:     global_buffer
      - .address_space:  global
        .offset:         56
        .size:           8
        .value_kind:     global_buffer
      - .address_space:  global
        .offset:         64
        .size:           8
        .value_kind:     global_buffer
      - .address_space:  global
        .offset:         72
        .size:           8
        .value_kind:     global_buffer
      - .offset:         80
        .size:           4
        .value_kind:     by_value
      - .address_space:  global
        .offset:         88
        .size:           8
        .value_kind:     global_buffer
      - .address_space:  global
        .offset:         96
        .size:           8
        .value_kind:     global_buffer
    .group_segment_fixed_size: 19712
    .kernarg_segment_align: 8
    .kernarg_segment_size: 104
    .language:       OpenCL C
    .language_version:
      - 2
      - 0
    .max_flat_workgroup_size: 176
    .name:           bluestein_single_back_len1232_dim1_dp_op_CI_CI
    .private_segment_fixed_size: 360
    .sgpr_count:     56
    .sgpr_spill_count: 0
    .symbol:         bluestein_single_back_len1232_dim1_dp_op_CI_CI.kd
    .uniform_work_group_size: 1
    .uses_dynamic_stack: false
    .vgpr_count:     256
    .vgpr_spill_count: 89
    .wavefront_size: 64
amdhsa.target:   amdgcn-amd-amdhsa--gfx906
amdhsa.version:
  - 1
  - 2
...

	.end_amdgpu_metadata
